;; amdgpu-corpus repo=ROCm/rocSOLVER kind=compiled arch=gfx950 opt=O3
	.amdgcn_target "amdgcn-amd-amdhsa--gfx950"
	.amdhsa_code_object_version 6
	.section	.text._ZN9rocsolver6v33100L10reset_infoIiiiEEvPT_T0_T1_S4_,"axG",@progbits,_ZN9rocsolver6v33100L10reset_infoIiiiEEvPT_T0_T1_S4_,comdat
	.globl	_ZN9rocsolver6v33100L10reset_infoIiiiEEvPT_T0_T1_S4_ ; -- Begin function _ZN9rocsolver6v33100L10reset_infoIiiiEEvPT_T0_T1_S4_
	.p2align	8
	.type	_ZN9rocsolver6v33100L10reset_infoIiiiEEvPT_T0_T1_S4_,@function
_ZN9rocsolver6v33100L10reset_infoIiiiEEvPT_T0_T1_S4_: ; @_ZN9rocsolver6v33100L10reset_infoIiiiEEvPT_T0_T1_S4_
; %bb.0:
	s_load_dword s3, s[0:1], 0x24
	s_load_dwordx4 s[4:7], s[0:1], 0x8
	s_waitcnt lgkmcnt(0)
	s_and_b32 s3, s3, 0xffff
	s_mul_i32 s2, s2, s3
	v_add_u32_e32 v0, s2, v0
	v_cmp_gt_i32_e32 vcc, s4, v0
	s_and_saveexec_b64 s[2:3], vcc
	s_cbranch_execz .LBB0_2
; %bb.1:
	s_load_dwordx2 s[0:1], s[0:1], 0x0
	v_ashrrev_i32_e32 v1, 31, v0
	v_mul_lo_u32 v2, v0, s6
	v_add_u32_e32 v2, s5, v2
	s_waitcnt lgkmcnt(0)
	v_lshl_add_u64 v[0:1], v[0:1], 2, s[0:1]
	global_store_dword v[0:1], v2, off
.LBB0_2:
	s_endpgm
	.section	.rodata,"a",@progbits
	.p2align	6, 0x0
	.amdhsa_kernel _ZN9rocsolver6v33100L10reset_infoIiiiEEvPT_T0_T1_S4_
		.amdhsa_group_segment_fixed_size 0
		.amdhsa_private_segment_fixed_size 0
		.amdhsa_kernarg_size 280
		.amdhsa_user_sgpr_count 2
		.amdhsa_user_sgpr_dispatch_ptr 0
		.amdhsa_user_sgpr_queue_ptr 0
		.amdhsa_user_sgpr_kernarg_segment_ptr 1
		.amdhsa_user_sgpr_dispatch_id 0
		.amdhsa_user_sgpr_kernarg_preload_length 0
		.amdhsa_user_sgpr_kernarg_preload_offset 0
		.amdhsa_user_sgpr_private_segment_size 0
		.amdhsa_uses_dynamic_stack 0
		.amdhsa_enable_private_segment 0
		.amdhsa_system_sgpr_workgroup_id_x 1
		.amdhsa_system_sgpr_workgroup_id_y 0
		.amdhsa_system_sgpr_workgroup_id_z 0
		.amdhsa_system_sgpr_workgroup_info 0
		.amdhsa_system_vgpr_workitem_id 0
		.amdhsa_next_free_vgpr 3
		.amdhsa_next_free_sgpr 8
		.amdhsa_accum_offset 4
		.amdhsa_reserve_vcc 1
		.amdhsa_float_round_mode_32 0
		.amdhsa_float_round_mode_16_64 0
		.amdhsa_float_denorm_mode_32 3
		.amdhsa_float_denorm_mode_16_64 3
		.amdhsa_dx10_clamp 1
		.amdhsa_ieee_mode 1
		.amdhsa_fp16_overflow 0
		.amdhsa_tg_split 0
		.amdhsa_exception_fp_ieee_invalid_op 0
		.amdhsa_exception_fp_denorm_src 0
		.amdhsa_exception_fp_ieee_div_zero 0
		.amdhsa_exception_fp_ieee_overflow 0
		.amdhsa_exception_fp_ieee_underflow 0
		.amdhsa_exception_fp_ieee_inexact 0
		.amdhsa_exception_int_div_zero 0
	.end_amdhsa_kernel
	.section	.text._ZN9rocsolver6v33100L10reset_infoIiiiEEvPT_T0_T1_S4_,"axG",@progbits,_ZN9rocsolver6v33100L10reset_infoIiiiEEvPT_T0_T1_S4_,comdat
.Lfunc_end0:
	.size	_ZN9rocsolver6v33100L10reset_infoIiiiEEvPT_T0_T1_S4_, .Lfunc_end0-_ZN9rocsolver6v33100L10reset_infoIiiiEEvPT_T0_T1_S4_
                                        ; -- End function
	.set _ZN9rocsolver6v33100L10reset_infoIiiiEEvPT_T0_T1_S4_.num_vgpr, 3
	.set _ZN9rocsolver6v33100L10reset_infoIiiiEEvPT_T0_T1_S4_.num_agpr, 0
	.set _ZN9rocsolver6v33100L10reset_infoIiiiEEvPT_T0_T1_S4_.numbered_sgpr, 8
	.set _ZN9rocsolver6v33100L10reset_infoIiiiEEvPT_T0_T1_S4_.num_named_barrier, 0
	.set _ZN9rocsolver6v33100L10reset_infoIiiiEEvPT_T0_T1_S4_.private_seg_size, 0
	.set _ZN9rocsolver6v33100L10reset_infoIiiiEEvPT_T0_T1_S4_.uses_vcc, 1
	.set _ZN9rocsolver6v33100L10reset_infoIiiiEEvPT_T0_T1_S4_.uses_flat_scratch, 0
	.set _ZN9rocsolver6v33100L10reset_infoIiiiEEvPT_T0_T1_S4_.has_dyn_sized_stack, 0
	.set _ZN9rocsolver6v33100L10reset_infoIiiiEEvPT_T0_T1_S4_.has_recursion, 0
	.set _ZN9rocsolver6v33100L10reset_infoIiiiEEvPT_T0_T1_S4_.has_indirect_call, 0
	.section	.AMDGPU.csdata,"",@progbits
; Kernel info:
; codeLenInByte = 96
; TotalNumSgprs: 14
; NumVgprs: 3
; NumAgprs: 0
; TotalNumVgprs: 3
; ScratchSize: 0
; MemoryBound: 0
; FloatMode: 240
; IeeeMode: 1
; LDSByteSize: 0 bytes/workgroup (compile time only)
; SGPRBlocks: 1
; VGPRBlocks: 0
; NumSGPRsForWavesPerEU: 14
; NumVGPRsForWavesPerEU: 3
; AccumOffset: 4
; Occupancy: 8
; WaveLimiterHint : 0
; COMPUTE_PGM_RSRC2:SCRATCH_EN: 0
; COMPUTE_PGM_RSRC2:USER_SGPR: 2
; COMPUTE_PGM_RSRC2:TRAP_HANDLER: 0
; COMPUTE_PGM_RSRC2:TGID_X_EN: 1
; COMPUTE_PGM_RSRC2:TGID_Y_EN: 0
; COMPUTE_PGM_RSRC2:TGID_Z_EN: 0
; COMPUTE_PGM_RSRC2:TIDIG_COMP_CNT: 0
; COMPUTE_PGM_RSRC3_GFX90A:ACCUM_OFFSET: 0
; COMPUTE_PGM_RSRC3_GFX90A:TG_SPLIT: 0
	.section	.text._ZN9rocsolver6v33100L12sterf_kernelIfEEviPT_lS3_lPiS4_iS2_S2_S2_,"axG",@progbits,_ZN9rocsolver6v33100L12sterf_kernelIfEEviPT_lS3_lPiS4_iS2_S2_S2_,comdat
	.globl	_ZN9rocsolver6v33100L12sterf_kernelIfEEviPT_lS3_lPiS4_iS2_S2_S2_ ; -- Begin function _ZN9rocsolver6v33100L12sterf_kernelIfEEviPT_lS3_lPiS4_iS2_S2_S2_
	.p2align	8
	.type	_ZN9rocsolver6v33100L12sterf_kernelIfEEviPT_lS3_lPiS4_iS2_S2_S2_,@function
_ZN9rocsolver6v33100L12sterf_kernelIfEEviPT_lS3_lPiS4_iS2_S2_S2_: ; @_ZN9rocsolver6v33100L12sterf_kernelIfEEviPT_lS3_lPiS4_iS2_S2_S2_
; %bb.0:
	s_load_dwordx8 s[12:19], s[0:1], 0x8
	s_load_dword s33, s[0:1], 0x0
	s_load_dwordx4 s[20:23], s[0:1], 0x38
	s_ashr_i32 s3, s2, 31
	s_waitcnt lgkmcnt(0)
	s_mul_hi_u32 s4, s14, s2
	s_mul_i32 s5, s14, s3
	s_add_i32 s4, s4, s5
	s_mul_i32 s5, s15, s2
	s_add_i32 s5, s4, s5
	s_mul_i32 s4, s14, s2
	s_lshl_b64 s[10:11], s[4:5], 2
	s_add_u32 s56, s12, s10
	s_mul_hi_u32 s4, s18, s2
	s_mul_i32 s5, s18, s3
	s_addc_u32 s57, s13, s11
	s_add_i32 s4, s4, s5
	s_mul_i32 s5, s19, s2
	s_add_i32 s5, s4, s5
	s_mul_i32 s4, s18, s2
	s_lshl_b64 s[4:5], s[4:5], 2
	s_add_u32 s14, s16, s4
	s_addc_u32 s15, s17, s5
	s_min_i32 s6, s33, s20
	s_cmp_lt_i32 s6, 1
	s_cbranch_scc1 .LBB1_162
; %bb.1:
	s_add_i32 s58, s33, -1
	s_add_u32 s59, s16, s4
	s_addc_u32 s60, s17, s5
	s_add_u32 s61, s59, -4
	s_addc_u32 s62, s60, -1
	s_add_u32 s63, s12, s10
	s_addc_u32 s64, s13, s11
	s_add_u32 s65, s63, 4
	s_addc_u32 s66, s64, 0
	s_add_u32 s67, s59, 4
	s_mov_b32 s16, 0x667f3bcd
	s_mov_b32 s18, 0.5
	v_mul_f32_e64 v8, s21, s21
	s_addc_u32 s68, s60, 0
	s_mov_b32 s69, 0
	v_mov_b32_e32 v9, 0
	s_mov_b32 s70, 0xf800000
	s_mov_b32 s71, 0x4f800000
	v_mov_b32_e32 v10, 0x260
	s_mov_b32 s17, 0x3ff6a09e
	s_mov_b32 s19, -0.5
	s_mov_b32 s72, 0
	s_mov_b32 s73, 0
	s_branch .LBB1_3
.LBB1_2:                                ;   in Loop: Header=BB1_3 Depth=1
	s_andn2_b64 vcc, exec, s[4:5]
	s_cbranch_vccz .LBB1_27
.LBB1_3:                                ; =>This Loop Header: Depth=1
                                        ;     Child Loop BB1_7 Depth 2
                                        ;     Child Loop BB1_15 Depth 2
	;; [unrolled: 1-line block ×8, first 2 shown]
                                        ;       Child Loop BB1_69 Depth 3
                                        ;       Child Loop BB1_81 Depth 3
                                        ;     Child Loop BB1_115 Depth 2
                                        ;       Child Loop BB1_117 Depth 3
                                        ;       Child Loop BB1_129 Depth 3
                                        ;     Child Loop BB1_59 Depth 2
                                        ;     Child Loop BB1_63 Depth 2
	s_mov_b32 s24, s72
	s_cmp_lt_i32 s72, 1
	s_cbranch_scc1 .LBB1_5
; %bb.4:                                ;   in Loop: Header=BB1_3 Depth=1
	s_mov_b32 s25, s69
	s_lshl_b64 s[4:5], s[24:25], 2
	s_add_u32 s4, s14, s4
	s_addc_u32 s5, s15, s5
	global_store_dword v9, v9, s[4:5] offset:-4
.LBB1_5:                                ;   in Loop: Header=BB1_3 Depth=1
	s_ashr_i32 s25, s24, 31
	s_lshl_b64 s[28:29], s[24:25], 2
	s_add_u32 s4, s61, s28
	s_addc_u32 s5, s62, s29
	s_add_u32 s8, s65, s28
	s_addc_u32 s9, s66, s29
	s_mov_b32 s26, s24
	s_mov_b64 s[30:31], -1
	s_cmp_ge_i32 s26, s58
	s_mov_b64 s[6:7], -1
                                        ; implicit-def: $sgpr72
	s_cbranch_scc1 .LBB1_7
.LBB1_6:                                ;   in Loop: Header=BB1_3 Depth=1
	global_load_dwordx2 v[0:1], v9, s[8:9] offset:-4
	global_load_dword v2, v9, s[4:5] offset:4
	s_add_u32 s34, s4, 4
	s_addc_u32 s35, s5, 0
	s_add_i32 s72, s26, 1
	s_add_u32 s8, s8, 4
	s_mov_b64 s[30:31], 0
	s_addc_u32 s9, s9, 0
	s_waitcnt vmcnt(1)
	v_mul_f32_e64 v3, |v0|, s71
	v_cmp_lt_f32_e64 vcc, |v0|, s70
	v_mul_f32_e64 v4, |v1|, s71
	v_cmp_lt_f32_e64 s[4:5], |v1|, s70
	v_cndmask_b32_e64 v0, |v0|, v3, vcc
	v_sqrt_f32_e32 v3, v0
	v_cndmask_b32_e64 v1, |v1|, v4, s[4:5]
	v_sqrt_f32_e32 v4, v1
	v_add_u32_e32 v5, -1, v3
	v_fma_f32 v12, -v5, v3, v0
	v_add_u32_e32 v7, -1, v4
	v_add_u32_e32 v6, 1, v3
	v_fma_f32 v14, -v7, v4, v1
	v_cmp_ge_f32_e64 s[6:7], 0, v12
	v_add_u32_e32 v11, 1, v4
	v_fma_f32 v13, -v6, v3, v0
	v_cndmask_b32_e64 v3, v3, v5, s[6:7]
	v_cmp_ge_f32_e64 s[6:7], 0, v14
	v_fma_f32 v15, -v11, v4, v1
	s_nop 0
	v_cndmask_b32_e64 v4, v4, v7, s[6:7]
	v_cmp_lt_f32_e64 s[6:7], 0, v13
	s_nop 1
	v_cndmask_b32_e64 v3, v3, v6, s[6:7]
	v_cmp_lt_f32_e64 s[6:7], 0, v15
	v_mul_f32_e32 v5, 0x37800000, v3
	v_cndmask_b32_e32 v3, v3, v5, vcc
	v_cndmask_b32_e64 v4, v4, v11, s[6:7]
	v_mul_f32_e32 v6, 0x37800000, v4
	v_cmp_class_f32_e32 vcc, v0, v10
	v_cndmask_b32_e64 v4, v4, v6, s[4:5]
	s_mov_b64 s[4:5], s[34:35]
	v_cndmask_b32_e32 v0, v3, v0, vcc
	v_cmp_class_f32_e32 vcc, v1, v10
	s_nop 1
	v_cndmask_b32_e32 v1, v4, v1, vcc
	v_mul_f32_e32 v0, v0, v1
	v_mul_f32_e32 v0, s21, v0
	s_waitcnt vmcnt(0)
	v_cmp_le_f32_e64 s[6:7], |v2|, v0
.LBB1_7:                                ;   Parent Loop BB1_3 Depth=1
                                        ; =>  This Inner Loop Header: Depth=2
	s_andn2_b64 vcc, exec, s[6:7]
	s_cbranch_vccz .LBB1_9
; %bb.8:                                ;   in Loop: Header=BB1_7 Depth=2
	s_mov_b32 s26, s72
	s_mov_b64 s[30:31], -1
	s_cmp_ge_i32 s26, s58
	s_mov_b64 s[6:7], -1
                                        ; implicit-def: $sgpr72
	s_cbranch_scc0 .LBB1_6
	s_branch .LBB1_7
.LBB1_9:                                ;   in Loop: Header=BB1_3 Depth=1
	s_andn2_b64 vcc, exec, s[30:31]
	s_mov_b64 s[6:7], -1
	s_cbranch_vccnz .LBB1_19
; %bb.10:                               ;   in Loop: Header=BB1_3 Depth=1
	s_andn2_b64 vcc, exec, s[6:7]
	s_cbranch_vccz .LBB1_20
.LBB1_11:                               ;   in Loop: Header=BB1_3 Depth=1
	s_cmp_lg_u32 s26, s24
	s_mov_b64 s[8:9], -1
	s_cbranch_scc0 .LBB1_21
.LBB1_12:                               ;   in Loop: Header=BB1_3 Depth=1
	s_ashr_i32 s27, s26, 31
	s_lshl_b64 s[4:5], s[26:27], 2
	s_add_u32 s30, s56, s4
	s_addc_u32 s31, s57, s5
	global_load_dword v0, v9, s[30:31]
	s_cmp_gt_i32 s26, s24
	s_cselect_b64 s[6:7], -1, 0
	s_cmp_le_i32 s26, s24
	s_waitcnt vmcnt(0)
	v_and_b32_e32 v11, 0x7fffffff, v0
	s_cbranch_scc1 .LBB1_25
; %bb.13:                               ;   in Loop: Header=BB1_3 Depth=1
	s_sub_i32 s34, s26, s24
	s_cmp_lt_u32 s34, 2
	s_cbranch_scc1 .LBB1_22
; %bb.14:                               ;   in Loop: Header=BB1_3 Depth=1
	s_and_b32 s27, s34, -2
	s_add_i32 s36, s27, -2
	s_mov_b32 s37, 0
	v_mov_b32_e32 v1, v11
.LBB1_15:                               ;   Parent Loop BB1_3 Depth=1
                                        ; =>  This Inner Loop Header: Depth=2
	s_add_i32 s4, s24, s37
	s_ashr_i32 s5, s4, 31
	s_lshl_b64 s[4:5], s[4:5], 2
	s_add_u32 s38, s56, s4
	s_addc_u32 s39, s57, s5
	s_add_u32 s4, s14, s4
	s_addc_u32 s5, s15, s5
	global_load_dwordx2 v[4:5], v9, s[38:39]
	global_load_dwordx2 v[6:7], v9, s[4:5]
	v_mov_b32_e32 v3, v1
	v_mov_b32_e32 v2, v11
	v_max_f32_e32 v1, v3, v3
	s_mov_b32 s35, s37
	v_max_f32_e32 v11, v2, v2
	s_add_i32 s37, s37, 2
	s_cmp_lg_u32 s36, s35
	s_cselect_b64 s[38:39], -1, 0
	s_waitcnt vmcnt(1)
	v_max_f32_e64 v5, |v5|, |v5|
	s_waitcnt vmcnt(0)
	v_max_f32_e64 v7, |v7|, |v7|
	v_max_f32_e64 v4, |v4|, |v4|
	v_max_f32_e64 v6, |v6|, |v6|
	v_max_f32_e32 v5, v5, v7
	v_max_f32_e32 v4, v4, v6
	v_cmp_u_f32_e32 vcc, v5, v5
	v_max_f32_e32 v1, v1, v5
	v_max_f32_e32 v11, v11, v4
	v_cndmask_b32_e64 v5, 0, 1, vcc
	v_cmp_u_f32_e32 vcc, v4, v4
	v_readfirstlane_b32 s4, v5
	s_lshl_b32 s4, s4, 1
	v_cndmask_b32_e64 v4, 0, 1, vcc
	s_nop 0
	v_readfirstlane_b32 s5, v4
	s_or_b32 s4, s5, s4
	s_and_b32 s40, s4, 3
	s_cmp_lg_u32 s40, 0
	s_cselect_b64 s[4:5], -1, 0
	s_cmp_eq_u32 s40, 0
	s_cselect_b64 s[40:41], -1, 0
	s_and_b64 s[38:39], s[40:41], s[38:39]
	s_and_b64 vcc, exec, s[38:39]
	s_cbranch_vccnz .LBB1_15
; %bb.16:                               ;   in Loop: Header=BB1_3 Depth=1
	s_xor_b64 s[36:37], s[4:5], -1
	s_cmp_eq_u32 s34, s27
	s_cselect_b64 s[40:41], -1, 0
	s_and_b64 s[36:37], s[40:41], s[36:37]
	s_mov_b64 s[38:39], 0
	s_and_b64 vcc, exec, s[36:37]
                                        ; implicit-def: $sgpr34
                                        ; implicit-def: $sgpr36_sgpr37
	s_cbranch_vccnz .LBB1_18
; %bb.17:                               ;   in Loop: Header=BB1_3 Depth=1
	s_and_b64 s[36:37], s[4:5], exec
	s_cselect_b32 s27, s35, s27
	s_add_i32 s34, s24, s27
	s_ashr_i32 s35, s34, 31
	s_lshl_b64 s[36:37], s[34:35], 2
	s_mov_b64 s[38:39], -1
.LBB1_18:                               ;   in Loop: Header=BB1_3 Depth=1
	v_cndmask_b32_e64 v2, v11, v2, s[4:5]
	v_cndmask_b32_e64 v1, v1, v3, s[4:5]
	v_max_f32_e32 v1, v1, v1
	v_max_f32_e32 v2, v2, v2
	;; [unrolled: 1-line block ×3, first 2 shown]
	s_and_b64 vcc, exec, s[38:39]
	s_cbranch_vccnz .LBB1_23
	s_branch .LBB1_25
.LBB1_19:                               ;   in Loop: Header=BB1_3 Depth=1
	global_store_dword v9, v9, s[4:5]
	s_cbranch_execnz .LBB1_11
.LBB1_20:                               ;   in Loop: Header=BB1_3 Depth=1
	s_max_i32 s26, s24, s58
	s_add_i32 s72, s26, 1
	s_cmp_lg_u32 s26, s24
	s_mov_b64 s[8:9], -1
	s_cbranch_scc1 .LBB1_12
.LBB1_21:                               ;   in Loop: Header=BB1_3 Depth=1
                                        ; implicit-def: $sgpr30_sgpr31
                                        ; implicit-def: $vgpr0
                                        ; implicit-def: $sgpr6_sgpr7
                                        ; implicit-def: $vgpr11
	s_mov_b64 s[4:5], -1
	s_cbranch_execz .LBB1_2
	s_branch .LBB1_26
.LBB1_22:                               ;   in Loop: Header=BB1_3 Depth=1
	s_mov_b32 s34, s24
	s_mov_b64 s[36:37], s[28:29]
	s_cbranch_execz .LBB1_25
.LBB1_23:                               ;   in Loop: Header=BB1_3 Depth=1
	s_add_u32 s4, s63, s36
	s_addc_u32 s5, s64, s37
	s_add_u32 s36, s59, s36
	s_addc_u32 s37, s60, s37
.LBB1_24:                               ;   Parent Loop BB1_3 Depth=1
                                        ; =>  This Inner Loop Header: Depth=2
	global_load_dword v1, v9, s[4:5]
	global_load_dword v2, v9, s[36:37]
	s_add_i32 s34, s34, 1
	s_add_u32 s4, s4, 4
	s_addc_u32 s5, s5, 0
	s_add_u32 s36, s36, 4
	s_addc_u32 s37, s37, 0
	s_cmp_lt_i32 s34, s26
	s_waitcnt vmcnt(0)
	v_max3_f32 v11, v11, |v1|, |v2|
	s_cbranch_scc1 .LBB1_24
.LBB1_25:                               ;   in Loop: Header=BB1_3 Depth=1
	v_cmp_eq_f32_e64 s[4:5], 0, v11
	s_and_b64 vcc, exec, s[4:5]
	s_mov_b64 s[4:5], -1
	s_cbranch_vccz .LBB1_2
.LBB1_26:                               ;   in Loop: Header=BB1_3 Depth=1
	s_cmp_ge_i32 s72, s33
	s_mov_b64 s[8:9], 0
	s_cselect_b64 s[4:5], -1, 0
	s_branch .LBB1_2
.LBB1_27:                               ;   in Loop: Header=BB1_3 Depth=1
	s_mov_b64 s[4:5], -1
	s_and_b64 vcc, exec, s[8:9]
                                        ; implicit-def: $sgpr27
	s_cbranch_vccz .LBB1_65
; %bb.28:                               ;   in Loop: Header=BB1_3 Depth=1
	v_cmp_nlt_f32_e32 vcc, s23, v11
	s_cbranch_vccz .LBB1_34
; %bb.29:                               ;   in Loop: Header=BB1_3 Depth=1
	v_cmp_gt_f32_e32 vcc, s22, v11
	s_cbranch_vccz .LBB1_35
; %bb.30:                               ;   in Loop: Header=BB1_3 Depth=1
	v_div_scale_f32 v1, s[4:5], s22, s22, v11
	v_rcp_f32_e32 v2, v1
	v_div_scale_f32 v3, vcc, v11, s22, v11
	s_mov_b64 s[4:5], 0
	v_fma_f32 v4, -v1, v2, 1.0
	v_fmac_f32_e32 v2, v4, v2
	v_mul_f32_e32 v4, v3, v2
	v_fma_f32 v5, -v1, v4, v3
	v_fmac_f32_e32 v4, v5, v2
	v_fma_f32 v1, -v1, v4, v3
	v_div_fmas_f32 v1, v1, v2, v4
	v_div_fixup_f32 v1, v1, s22, v11
	v_mul_f32_e32 v2, v0, v1
	s_and_b64 vcc, exec, s[6:7]
	global_store_dword v9, v2, s[30:31]
	s_cbranch_vccz .LBB1_35
; %bb.31:                               ;   in Loop: Header=BB1_3 Depth=1
	s_add_u32 s4, s63, s28
	s_addc_u32 s5, s64, s29
	s_add_u32 s8, s59, s28
	s_addc_u32 s9, s60, s29
	s_mov_b32 s27, s24
.LBB1_32:                               ;   Parent Loop BB1_3 Depth=1
                                        ; =>  This Inner Loop Header: Depth=2
	global_load_dword v2, v9, s[4:5]
	s_add_i32 s27, s27, 1
	s_waitcnt vmcnt(0)
	v_mul_f32_e32 v2, v1, v2
	global_store_dword v9, v2, s[4:5]
	global_load_dword v2, v9, s[8:9]
	s_add_u32 s4, s4, 4
	s_addc_u32 s5, s5, 0
	s_waitcnt vmcnt(0)
	v_mul_f32_e32 v2, v1, v2
	global_store_dword v9, v2, s[8:9]
	s_add_u32 s8, s8, 4
	s_addc_u32 s9, s9, 0
	s_cmp_lt_i32 s27, s26
	s_cbranch_scc1 .LBB1_32
; %bb.33:                               ;   in Loop: Header=BB1_3 Depth=1
	s_mov_b64 s[4:5], -1
	s_branch .LBB1_40
.LBB1_34:                               ;   in Loop: Header=BB1_3 Depth=1
	s_mov_b64 s[4:5], 0
	s_cbranch_execnz .LBB1_36
	s_branch .LBB1_40
.LBB1_35:                               ;   in Loop: Header=BB1_3 Depth=1
	s_branch .LBB1_40
.LBB1_36:                               ;   in Loop: Header=BB1_3 Depth=1
	v_div_scale_f32 v1, s[8:9], s23, s23, v11
	v_rcp_f32_e32 v2, v1
	v_div_scale_f32 v3, vcc, v11, s23, v11
	v_fma_f32 v4, -v1, v2, 1.0
	v_fmac_f32_e32 v2, v4, v2
	v_mul_f32_e32 v4, v3, v2
	v_fma_f32 v5, -v1, v4, v3
	v_fmac_f32_e32 v4, v5, v2
	v_fma_f32 v1, -v1, v4, v3
	v_div_fmas_f32 v1, v1, v2, v4
	v_div_fixup_f32 v1, v1, s23, v11
	v_mul_f32_e32 v0, v0, v1
	s_and_b64 vcc, exec, s[6:7]
	global_store_dword v9, v0, s[30:31]
	s_cbranch_vccz .LBB1_40
; %bb.37:                               ;   in Loop: Header=BB1_3 Depth=1
	s_add_u32 s4, s63, s28
	s_addc_u32 s5, s64, s29
	s_add_u32 s8, s59, s28
	s_addc_u32 s9, s60, s29
	s_mov_b32 s27, s24
.LBB1_38:                               ;   Parent Loop BB1_3 Depth=1
                                        ; =>  This Inner Loop Header: Depth=2
	global_load_dword v0, v9, s[4:5]
	s_add_i32 s27, s27, 1
	s_waitcnt vmcnt(0)
	v_mul_f32_e32 v0, v1, v0
	global_store_dword v9, v0, s[4:5]
	global_load_dword v0, v9, s[8:9]
	s_add_u32 s4, s4, 4
	s_addc_u32 s5, s5, 0
	s_waitcnt vmcnt(0)
	v_mul_f32_e32 v0, v1, v0
	global_store_dword v9, v0, s[8:9]
	s_add_u32 s8, s8, 4
	s_addc_u32 s9, s9, 0
	s_cmp_ge_i32 s27, s26
	s_cbranch_scc0 .LBB1_38
; %bb.39:                               ;   in Loop: Header=BB1_3 Depth=1
	s_mov_b64 s[4:5], -1
.LBB1_40:                               ;   in Loop: Header=BB1_3 Depth=1
	v_cndmask_b32_e64 v0, 0, 1, s[6:7]
	s_and_b64 vcc, exec, s[4:5]
	v_cmp_ne_u32_e64 s[4:5], 1, v0
	s_cbranch_vccz .LBB1_50
; %bb.41:                               ;   in Loop: Header=BB1_3 Depth=1
	s_and_b64 vcc, exec, s[4:5]
	s_cbranch_vccnz .LBB1_50
; %bb.42:                               ;   in Loop: Header=BB1_3 Depth=1
	s_add_i32 s6, s24, 1
	s_max_i32 s6, s26, s6
	s_sub_i32 s27, s6, s24
	s_mov_b64 s[34:35], -1
	s_cmp_lt_u32 s27, 2
	s_mov_b32 s6, s24
	s_mov_b64 s[8:9], s[28:29]
	s_cbranch_scc1 .LBB1_47
; %bb.43:                               ;   in Loop: Header=BB1_3 Depth=1
	s_and_b32 s36, s27, -2
	s_mov_b32 s6, s24
	s_mov_b32 s8, s36
.LBB1_44:                               ;   Parent Loop BB1_3 Depth=1
                                        ; =>  This Inner Loop Header: Depth=2
	s_ashr_i32 s7, s6, 31
	s_lshl_b64 s[34:35], s[6:7], 2
	s_add_u32 s34, s14, s34
	s_addc_u32 s35, s15, s35
	global_load_dwordx2 v[0:1], v9, s[34:35]
	s_add_i32 s8, s8, -2
	s_add_i32 s6, s6, 2
	s_cmp_lg_u32 s8, 0
	s_waitcnt vmcnt(0)
	v_pk_mul_f32 v[0:1], v[0:1], v[0:1]
	global_store_dwordx2 v9, v[0:1], s[34:35]
	s_cbranch_scc1 .LBB1_44
; %bb.45:                               ;   in Loop: Header=BB1_3 Depth=1
	s_cmp_eq_u32 s27, s36
	s_mov_b64 s[34:35], 0
                                        ; implicit-def: $sgpr6
                                        ; implicit-def: $sgpr8_sgpr9
	s_cbranch_scc1 .LBB1_47
; %bb.46:                               ;   in Loop: Header=BB1_3 Depth=1
	s_add_i32 s6, s24, s36
	s_ashr_i32 s7, s6, 31
	s_lshl_b64 s[8:9], s[6:7], 2
	s_mov_b64 s[34:35], -1
.LBB1_47:                               ;   in Loop: Header=BB1_3 Depth=1
	s_and_b64 vcc, exec, s[34:35]
	s_cbranch_vccz .LBB1_50
; %bb.48:                               ;   in Loop: Header=BB1_3 Depth=1
	s_add_u32 s8, s59, s8
	s_addc_u32 s9, s60, s9
.LBB1_49:                               ;   Parent Loop BB1_3 Depth=1
                                        ; =>  This Inner Loop Header: Depth=2
	global_load_dword v0, v9, s[8:9]
	s_add_i32 s6, s6, 1
	s_waitcnt vmcnt(0)
	v_mul_f32_e32 v0, v0, v0
	global_store_dword v9, v0, s[8:9]
	s_add_u32 s8, s8, 4
	s_addc_u32 s9, s9, 0
	s_cmp_lt_i32 s6, s26
	s_cbranch_scc1 .LBB1_49
.LBB1_50:                               ;   in Loop: Header=BB1_3 Depth=1
	s_lshl_b64 s[6:7], s[24:25], 2
	s_add_u32 s6, s56, s6
	s_addc_u32 s7, s57, s7
	global_load_dword v0, v9, s[30:31]
	global_load_dword v1, v9, s[6:7]
	s_mov_b64 s[8:9], -1
                                        ; implicit-def: $sgpr27
	s_waitcnt vmcnt(0)
	v_cmp_lt_f32_e64 s[6:7], |v0|, |v1|
	s_and_b64 s[6:7], s[6:7], exec
	s_cselect_b32 s25, s24, s26
	s_cselect_b32 s34, s26, s24
	s_cmp_lt_i32 s73, s20
	s_cselect_b64 s[6:7], -1, 0
	v_cndmask_b32_e64 v0, 0, 1, s[6:7]
	s_cmp_lt_i32 s25, s34
	v_cmp_ne_u32_e64 s[6:7], 1, v0
	s_cbranch_scc0 .LBB1_53
; %bb.51:                               ;   in Loop: Header=BB1_3 Depth=1
	s_andn2_b64 vcc, exec, s[8:9]
	s_cbranch_vccz .LBB1_55
.LBB1_52:                               ;   in Loop: Header=BB1_3 Depth=1
	v_cmp_lt_f32_e32 vcc, s23, v11
	s_andn2_b64 vcc, exec, vcc
	s_cbranch_vccz .LBB1_57
	s_branch .LBB1_60
.LBB1_53:                               ;   in Loop: Header=BB1_3 Depth=1
	s_and_b64 vcc, exec, s[6:7]
	s_mov_b32 s27, s73
	s_mov_b32 s36, s34
	s_cbranch_vccz .LBB1_67
.LBB1_54:                               ;   in Loop: Header=BB1_3 Depth=1
	s_cbranch_execnz .LBB1_52
.LBB1_55:                               ;   in Loop: Header=BB1_3 Depth=1
	s_and_b64 vcc, exec, s[6:7]
	s_cbranch_vccz .LBB1_115
.LBB1_56:                               ;   in Loop: Header=BB1_3 Depth=1
	s_mov_b32 s27, s73
	v_cmp_lt_f32_e32 vcc, s23, v11
	s_andn2_b64 vcc, exec, vcc
	s_cbranch_vccnz .LBB1_60
.LBB1_57:                               ;   in Loop: Header=BB1_3 Depth=1
	global_load_dword v1, v9, s[30:31]
	v_div_scale_f32 v0, s[6:7], v11, v11, s23
	v_rcp_f32_e32 v2, v0
	v_div_scale_f32 v3, vcc, s23, v11, s23
	v_fma_f32 v4, -v0, v2, 1.0
	v_fmac_f32_e32 v2, v4, v2
	v_mul_f32_e32 v4, v3, v2
	v_fma_f32 v5, -v0, v4, v3
	v_fmac_f32_e32 v4, v5, v2
	v_fma_f32 v0, -v0, v4, v3
	v_div_fmas_f32 v0, v0, v2, v4
	v_div_fixup_f32 v0, v0, v11, s23
	s_and_b64 vcc, exec, s[4:5]
	s_waitcnt vmcnt(0)
	v_mul_f32_e32 v1, v0, v1
	global_store_dword v9, v1, s[30:31]
	s_cbranch_vccnz .LBB1_60
; %bb.58:                               ;   in Loop: Header=BB1_3 Depth=1
	s_add_u32 s6, s63, s28
	s_addc_u32 s7, s64, s29
	s_add_u32 s8, s59, s28
	s_addc_u32 s9, s60, s29
	s_mov_b32 s25, s24
.LBB1_59:                               ;   Parent Loop BB1_3 Depth=1
                                        ; =>  This Inner Loop Header: Depth=2
	global_load_dword v1, v9, s[6:7]
	s_add_i32 s25, s25, 1
	s_waitcnt vmcnt(0)
	v_mul_f32_e32 v1, v0, v1
	global_store_dword v9, v1, s[6:7]
	global_load_dword v1, v9, s[8:9]
	s_add_u32 s6, s6, 4
	s_addc_u32 s7, s7, 0
	s_waitcnt vmcnt(0)
	v_mul_f32_e32 v1, v0, v1
	global_store_dword v9, v1, s[8:9]
	s_add_u32 s8, s8, 4
	s_addc_u32 s9, s9, 0
	s_cmp_lt_i32 s25, s26
	s_cbranch_scc1 .LBB1_59
.LBB1_60:                               ;   in Loop: Header=BB1_3 Depth=1
	v_cmp_ngt_f32_e32 vcc, s22, v11
	s_cbranch_vccnz .LBB1_64
; %bb.61:                               ;   in Loop: Header=BB1_3 Depth=1
	global_load_dword v1, v9, s[30:31]
	v_div_scale_f32 v0, s[6:7], v11, v11, s22
	v_rcp_f32_e32 v2, v0
	v_div_scale_f32 v3, vcc, s22, v11, s22
	v_fma_f32 v4, -v0, v2, 1.0
	v_fmac_f32_e32 v2, v4, v2
	v_mul_f32_e32 v4, v3, v2
	v_fma_f32 v5, -v0, v4, v3
	v_fmac_f32_e32 v4, v5, v2
	v_fma_f32 v0, -v0, v4, v3
	v_div_fmas_f32 v0, v0, v2, v4
	v_div_fixup_f32 v0, v0, v11, s22
	s_and_b64 vcc, exec, s[4:5]
	s_waitcnt vmcnt(0)
	v_mul_f32_e32 v1, v0, v1
	global_store_dword v9, v1, s[30:31]
	s_cbranch_vccnz .LBB1_64
; %bb.62:                               ;   in Loop: Header=BB1_3 Depth=1
	s_add_u32 s4, s63, s28
	s_addc_u32 s5, s64, s29
	s_add_u32 s6, s59, s28
	s_addc_u32 s7, s60, s29
.LBB1_63:                               ;   Parent Loop BB1_3 Depth=1
                                        ; =>  This Inner Loop Header: Depth=2
	global_load_dword v1, v9, s[4:5]
	s_add_i32 s24, s24, 1
	s_waitcnt vmcnt(0)
	v_mul_f32_e32 v1, v0, v1
	global_store_dword v9, v1, s[4:5]
	global_load_dword v1, v9, s[6:7]
	s_add_u32 s4, s4, 4
	s_addc_u32 s5, s5, 0
	s_waitcnt vmcnt(0)
	v_mul_f32_e32 v1, v0, v1
	global_store_dword v9, v1, s[6:7]
	s_add_u32 s6, s6, 4
	s_addc_u32 s7, s7, 0
	s_cmp_lt_i32 s24, s26
	s_cbranch_scc1 .LBB1_63
.LBB1_64:                               ;   in Loop: Header=BB1_3 Depth=1
	s_cmp_ge_i32 s27, s20
	s_cselect_b64 s[4:5], -1, 0
	s_cmp_ge_i32 s72, s33
	s_cselect_b64 s[6:7], -1, 0
	s_or_b64 s[4:5], s[6:7], s[4:5]
.LBB1_65:                               ;   in Loop: Header=BB1_3 Depth=1
	s_and_b64 vcc, exec, s[4:5]
	s_mov_b32 s73, s27
	s_cbranch_vccz .LBB1_3
	s_branch .LBB1_162
.LBB1_66:                               ;   in Loop: Header=BB1_67 Depth=2
	s_andn2_b64 vcc, exec, s[38:39]
	s_cbranch_vccz .LBB1_54
.LBB1_67:                               ;   Parent Loop BB1_3 Depth=1
                                        ; =>  This Loop Header: Depth=2
                                        ;       Child Loop BB1_69 Depth 3
                                        ;       Child Loop BB1_81 Depth 3
	s_ashr_i32 s37, s36, 31
	s_max_i32 s42, s25, s36
	s_lshl_b64 s[44:45], s[36:37], 2
	s_add_u32 s8, s61, s44
	s_addc_u32 s9, s62, s45
	s_add_u32 s38, s65, s44
	s_addc_u32 s39, s66, s45
	s_mov_b32 s35, s36
	s_mov_b64 s[40:41], -1
	s_cmp_ge_i32 s35, s25
	s_mov_b64 s[46:47], -1
                                        ; implicit-def: $sgpr37
	s_cbranch_scc1 .LBB1_69
.LBB1_68:                               ;   in Loop: Header=BB1_67 Depth=2
	global_load_dwordx2 v[0:1], v9, s[38:39] offset:-4
	global_load_dword v2, v9, s[8:9] offset:4
	s_add_u32 s8, s8, 4
	s_addc_u32 s9, s9, 0
	s_add_i32 s37, s35, 1
	s_add_u32 s38, s38, 4
	s_mov_b64 s[40:41], 0
	s_addc_u32 s39, s39, 0
	s_waitcnt vmcnt(1)
	v_mul_f32_e32 v0, v0, v1
	v_mul_f32_e64 v0, v8, |v0|
	s_waitcnt vmcnt(0)
	v_cmp_le_f32_e64 s[46:47], |v2|, v0
.LBB1_69:                               ;   Parent Loop BB1_3 Depth=1
                                        ;     Parent Loop BB1_67 Depth=2
                                        ; =>    This Inner Loop Header: Depth=3
	s_andn2_b64 vcc, exec, s[46:47]
	s_cbranch_vccz .LBB1_71
; %bb.70:                               ;   in Loop: Header=BB1_69 Depth=3
	s_mov_b32 s35, s37
	s_mov_b64 s[40:41], -1
	s_cmp_ge_i32 s35, s25
	s_mov_b64 s[46:47], -1
                                        ; implicit-def: $sgpr37
	s_cbranch_scc0 .LBB1_68
	s_branch .LBB1_69
.LBB1_71:                               ;   in Loop: Header=BB1_67 Depth=2
	s_andn2_b64 vcc, exec, s[40:41]
	s_cbranch_vccz .LBB1_73
; %bb.72:                               ;   in Loop: Header=BB1_67 Depth=2
	s_mov_b32 s42, s35
	global_store_dword v9, v9, s[8:9]
.LBB1_73:                               ;   in Loop: Header=BB1_67 Depth=2
	s_add_i32 s8, s36, 1
	s_cmp_eq_u32 s42, s36
	s_mov_b64 s[38:39], -1
	s_cbranch_scc1 .LBB1_89
; %bb.74:                               ;   in Loop: Header=BB1_67 Depth=2
	s_add_u32 s40, s56, s44
	s_addc_u32 s41, s57, s45
	global_load_dword v12, v9, s[40:41]
	s_cmp_lg_u32 s42, s8
	s_cbranch_scc0 .LBB1_90
; %bb.75:                               ;   in Loop: Header=BB1_67 Depth=2
	s_mov_b64 s[46:47], 0
	s_cmp_lg_u32 s27, s20
	s_mov_b32 s35, s20
	s_mov_b64 s[8:9], 0
	s_cbranch_scc0 .LBB1_91
; %bb.76:                               ;   in Loop: Header=BB1_67 Depth=2
	s_add_u32 s48, s14, s44
	s_addc_u32 s49, s15, s45
	global_load_dword v0, v9, s[48:49]
	s_ashr_i32 s43, s42, 31
	s_lshl_b64 s[52:53], s[42:43], 2
	s_add_u32 s50, s56, s52
	s_addc_u32 s51, s57, s53
	global_load_dword v1, v9, s[50:51]
	global_load_dword v2, v9, s[40:41] offset:4
	s_cmp_le_i32 s42, s36
	s_waitcnt vmcnt(2)
	v_mul_f32_e32 v3, 0x4f800000, v0
	v_cmp_gt_f32_e32 vcc, s70, v0
	s_waitcnt vmcnt(0)
	v_sub_f32_e32 v2, v2, v12
	v_cndmask_b32_e32 v0, v0, v3, vcc
	v_sqrt_f32_e32 v3, v0
	s_nop 0
	v_add_u32_e32 v4, -1, v3
	v_add_u32_e32 v5, 1, v3
	v_fma_f32 v6, -v4, v3, v0
	v_fma_f32 v7, -v5, v3, v0
	v_cmp_ge_f32_e64 s[8:9], 0, v6
	s_nop 1
	v_cndmask_b32_e64 v3, v3, v4, s[8:9]
	v_cmp_lt_f32_e64 s[8:9], 0, v7
	s_nop 1
	v_cndmask_b32_e64 v3, v3, v5, s[8:9]
	v_mul_f32_e32 v4, 0x37800000, v3
	v_cndmask_b32_e32 v3, v3, v4, vcc
	v_cmp_class_f32_e32 vcc, v0, v10
	s_nop 1
	v_cndmask_b32_e32 v0, v3, v0, vcc
	v_add_f32_e32 v3, v0, v0
	v_div_scale_f32 v4, s[8:9], v3, v3, v2
	v_rcp_f32_e32 v5, v4
	v_div_scale_f32 v6, vcc, v2, v3, v2
	v_fma_f32 v7, -v4, v5, 1.0
	v_fmac_f32_e32 v5, v7, v5
	v_mul_f32_e32 v7, v6, v5
	v_fma_f32 v13, -v4, v7, v6
	v_fmac_f32_e32 v7, v13, v5
	v_fma_f32 v4, -v4, v7, v6
	v_div_fmas_f32 v4, v4, v5, v7
	v_div_fixup_f32 v2, v4, v3, v2
	v_fma_f32 v3, v2, v2, 1.0
	v_mul_f32_e32 v4, 0x4f800000, v3
	v_cmp_gt_f32_e32 vcc, s70, v3
	s_nop 1
	v_cndmask_b32_e32 v3, v3, v4, vcc
	v_sqrt_f32_e32 v4, v3
	s_nop 0
	v_add_u32_e32 v5, -1, v4
	v_add_u32_e32 v6, 1, v4
	v_fma_f32 v7, -v5, v4, v3
	v_fma_f32 v13, -v6, v4, v3
	v_cmp_ge_f32_e64 s[8:9], 0, v7
	s_nop 1
	v_cndmask_b32_e64 v4, v4, v5, s[8:9]
	v_cmp_lt_f32_e64 s[8:9], 0, v13
	s_nop 1
	v_cndmask_b32_e64 v4, v4, v6, s[8:9]
	v_mul_f32_e32 v5, 0x37800000, v4
	v_cndmask_b32_e32 v4, v4, v5, vcc
	v_cmp_class_f32_e32 vcc, v3, v10
	s_nop 1
	v_cndmask_b32_e32 v3, v4, v3, vcc
	v_cmp_nle_f32_e32 vcc, 0, v2
	s_nop 1
	v_cndmask_b32_e64 v3, |v3|, -|v3|, vcc
	v_add_f32_e32 v2, v2, v3
	v_div_scale_f32 v3, s[8:9], v2, v2, v0
	v_rcp_f32_e32 v4, v3
	v_div_scale_f32 v5, vcc, v0, v2, v0
	v_fma_f32 v6, -v3, v4, 1.0
	v_fmac_f32_e32 v4, v6, v4
	v_mul_f32_e32 v6, v5, v4
	v_fma_f32 v7, -v3, v6, v5
	v_fmac_f32_e32 v6, v7, v4
	v_fma_f32 v3, -v3, v6, v5
	v_div_fmas_f32 v3, v3, v4, v6
	v_div_fixup_f32 v0, v3, v2, v0
	v_sub_f32_e32 v13, v12, v0
	v_sub_f32_e32 v7, v1, v13
	v_mul_f32_e32 v0, v7, v7
	v_mov_b32_e32 v1, 0
	s_cbranch_scc1 .LBB1_97
; %bb.77:                               ;   in Loop: Header=BB1_67 Depth=2
	s_add_u32 s8, s14, s52
	s_addc_u32 s9, s15, s53
	global_load_dword v14, v9, s[8:9] offset:-4
	global_load_dword v15, v9, s[50:51] offset:-4
	s_waitcnt vmcnt(1)
	v_add_f32_e32 v2, v0, v14
	v_div_scale_f32 v1, s[8:9], v2, v2, v14
	v_div_scale_f32 v4, s[8:9], v2, v2, v0
	v_rcp_f32_e32 v5, v1
	v_rcp_f32_e32 v16, v4
	v_div_scale_f32 v3, vcc, v14, v2, v14
	v_fma_f32 v18, -v1, v5, 1.0
	v_fma_f32 v19, -v4, v16, 1.0
	v_fmac_f32_e32 v5, v18, v5
	v_div_scale_f32 v17, s[8:9], v0, v2, v0
	v_fmac_f32_e32 v16, v19, v16
	v_mul_f32_e32 v18, v3, v5
	v_mul_f32_e32 v19, v17, v16
	v_fma_f32 v20, -v1, v18, v3
	v_fma_f32 v21, -v4, v19, v17
	v_fmac_f32_e32 v18, v20, v5
	v_fmac_f32_e32 v19, v21, v16
	v_fma_f32 v1, -v1, v18, v3
	v_fma_f32 v3, -v4, v19, v17
	v_div_fmas_f32 v1, v1, v5, v18
	s_mov_b64 vcc, s[8:9]
	v_div_fixup_f32 v1, v1, v2, v14
	v_div_fmas_f32 v3, v3, v16, v19
	s_waitcnt vmcnt(0)
	v_sub_f32_e32 v6, v15, v13
	v_div_fixup_f32 v2, v3, v2, v0
	v_mov_b32_e32 v3, v1
	v_mul_f32_e32 v0, v7, v1
	v_pk_fma_f32 v[4:5], v[6:7], v[2:3], v[0:1] op_sel_hi:[1,1,0] neg_lo:[0,0,1] neg_hi:[0,0,1]
	v_cmp_eq_f32_e32 vcc, 0, v2
	v_sub_f32_e32 v0, v15, v4
	v_add_f32_e32 v0, v7, v0
	global_store_dword v9, v0, s[50:51]
	s_cbranch_vccnz .LBB1_79
; %bb.78:                               ;   in Loop: Header=BB1_67 Depth=2
	v_mul_f32_e32 v0, v4, v4
	v_div_scale_f32 v3, s[8:9], v2, v2, v0
	v_rcp_f32_e32 v5, v3
	v_div_scale_f32 v6, vcc, v0, v2, v0
	v_fma_f32 v7, -v3, v5, 1.0
	v_fmac_f32_e32 v5, v7, v5
	v_mul_f32_e32 v7, v6, v5
	v_fma_f32 v14, -v3, v7, v6
	v_fmac_f32_e32 v7, v14, v5
	v_fma_f32 v3, -v3, v7, v6
	v_div_fmas_f32 v3, v3, v5, v7
	v_div_fixup_f32 v14, v3, v2, v0
.LBB1_79:                               ;   in Loop: Header=BB1_67 Depth=2
	s_add_i32 s8, s42, -1
	s_cmp_le_i32 s8, s36
	s_cbranch_scc1 .LBB1_96
; %bb.80:                               ;   in Loop: Header=BB1_67 Depth=2
	s_add_i32 s8, s42, -2
	s_ashr_i32 s9, s8, 31
	s_lshl_b64 s[8:9], s[8:9], 2
	s_add_u32 s52, s65, s8
	s_addc_u32 s53, s66, s9
	s_add_u32 s8, s67, s8
	s_addc_u32 s9, s68, s9
	s_mov_b32 s35, -1
.LBB1_81:                               ;   Parent Loop BB1_3 Depth=1
                                        ;     Parent Loop BB1_67 Depth=2
                                        ; =>    This Inner Loop Header: Depth=3
	global_load_dword v3, v9, s[8:9] offset:-4
	s_add_u32 s50, s8, -4
	s_addc_u32 s51, s9, -1
	v_mov_b32_e32 v7, v4
	s_cmp_eq_u32 s35, 0
	s_waitcnt vmcnt(0)
	v_add_f32_e32 v0, v14, v3
	s_cbranch_scc1 .LBB1_83
; %bb.82:                               ;   in Loop: Header=BB1_81 Depth=3
	v_mul_f32_e32 v1, v1, v0
	global_store_dword v9, v1, s[8:9]
.LBB1_83:                               ;   in Loop: Header=BB1_81 Depth=3
	global_load_dword v15, v9, s[52:53] offset:-4
	v_div_scale_f32 v1, s[8:9], v0, v0, v3
	v_div_scale_f32 v5, s[8:9], v0, v0, v14
	v_rcp_f32_e32 v16, v1
	v_rcp_f32_e32 v17, v5
	v_div_scale_f32 v4, vcc, v3, v0, v3
	v_fma_f32 v18, -v1, v16, 1.0
	v_fma_f32 v19, -v5, v17, 1.0
	v_fmac_f32_e32 v16, v18, v16
	v_div_scale_f32 v6, s[8:9], v14, v0, v14
	v_fmac_f32_e32 v17, v19, v17
	v_mul_f32_e32 v18, v4, v16
	v_mul_f32_e32 v19, v6, v17
	v_fma_f32 v20, -v1, v18, v4
	v_fma_f32 v21, -v5, v19, v6
	v_fmac_f32_e32 v18, v20, v16
	v_fmac_f32_e32 v19, v21, v17
	v_fma_f32 v1, -v1, v18, v4
	v_fma_f32 v4, -v5, v19, v6
	v_div_fmas_f32 v1, v1, v16, v18
	s_mov_b64 vcc, s[8:9]
	v_div_fixup_f32 v1, v1, v0, v3
	v_div_fmas_f32 v4, v4, v17, v19
	v_div_fixup_f32 v0, v4, v0, v14
	v_mul_f32_e32 v4, v7, v1
	s_add_u32 s54, s52, -4
	v_cmp_eq_f32_e32 vcc, 0, v0
	s_addc_u32 s55, s53, -1
	s_and_b64 vcc, exec, vcc
	s_waitcnt vmcnt(0)
	v_sub_f32_e32 v6, v15, v13
	v_pk_fma_f32 v[4:5], v[6:7], v[0:1], v[4:5] op_sel_hi:[1,1,0] neg_lo:[0,0,1] neg_hi:[0,0,1]
	s_nop 0
	v_sub_f32_e32 v5, v15, v4
	v_add_f32_e32 v5, v7, v5
	global_store_dword v9, v5, s[52:53]
	s_cbranch_vccz .LBB1_88
; %bb.84:                               ;   in Loop: Header=BB1_81 Depth=3
	v_mul_f32_e32 v14, v2, v3
	s_cbranch_execnz .LBB1_86
.LBB1_85:                               ;   in Loop: Header=BB1_81 Depth=3
	v_mul_f32_e32 v2, v4, v4
	v_div_scale_f32 v3, s[8:9], v0, v0, v2
	v_rcp_f32_e32 v5, v3
	v_div_scale_f32 v6, vcc, v2, v0, v2
	v_fma_f32 v7, -v3, v5, 1.0
	v_fmac_f32_e32 v5, v7, v5
	v_mul_f32_e32 v7, v6, v5
	v_fma_f32 v14, -v3, v7, v6
	v_fmac_f32_e32 v7, v14, v5
	v_fma_f32 v3, -v3, v7, v6
	v_div_fmas_f32 v3, v3, v5, v7
	v_div_fixup_f32 v14, v3, v0, v2
.LBB1_86:                               ;   in Loop: Header=BB1_81 Depth=3
	s_add_i32 s35, s35, -1
	s_add_i32 s8, s42, s35
	s_cmp_le_i32 s8, s36
	s_cbranch_scc1 .LBB1_96
; %bb.87:                               ;   in Loop: Header=BB1_81 Depth=3
	s_mov_b64 s[8:9], s[50:51]
	s_mov_b64 s[52:53], s[54:55]
	v_mov_b32_e32 v2, v0
	s_branch .LBB1_81
.LBB1_88:                               ;   in Loop: Header=BB1_81 Depth=3
                                        ; implicit-def: $vgpr14
	s_branch .LBB1_85
.LBB1_89:                               ;   in Loop: Header=BB1_67 Depth=2
	s_mov_b32 s36, s8
	s_branch .LBB1_112
.LBB1_90:                               ;   in Loop: Header=BB1_67 Depth=2
	s_mov_b64 s[46:47], -1
	s_mov_b64 s[8:9], 0
                                        ; implicit-def: $sgpr35
.LBB1_91:                               ;   in Loop: Header=BB1_67 Depth=2
	s_and_b64 vcc, exec, s[46:47]
	s_cbranch_vccz .LBB1_98
.LBB1_92:                               ;   in Loop: Header=BB1_67 Depth=2
	s_add_u32 s44, s14, s44
	s_addc_u32 s45, s15, s45
	global_load_dword v0, v9, s[44:45]
	s_ashr_i32 s43, s42, 31
	s_lshl_b64 s[8:9], s[42:43], 2
	s_add_u32 s42, s56, s8
	s_addc_u32 s43, s57, s9
	global_load_dword v2, v9, s[42:43]
	s_waitcnt vmcnt(1)
	v_mul_f32_e32 v1, 0x4f800000, v0
	v_cmp_gt_f32_e32 vcc, s70, v0
	s_waitcnt vmcnt(0)
	v_sub_f32_e32 v3, v12, v2
	v_cndmask_b32_e32 v0, v0, v1, vcc
	v_sqrt_f32_e32 v1, v0
	s_nop 0
	v_add_u32_e32 v4, -1, v1
	v_add_u32_e32 v5, 1, v1
	v_fma_f32 v6, -v4, v1, v0
	v_fma_f32 v7, -v5, v1, v0
	v_cmp_ge_f32_e64 s[8:9], 0, v6
	s_nop 1
	v_cndmask_b32_e64 v1, v1, v4, s[8:9]
	v_cmp_lt_f32_e64 s[8:9], 0, v7
	s_nop 1
	v_cndmask_b32_e64 v1, v1, v5, s[8:9]
	v_mul_f32_e32 v4, 0x37800000, v1
	v_cndmask_b32_e32 v1, v1, v4, vcc
	v_cmp_class_f32_e32 vcc, v0, v10
	s_nop 1
	v_cndmask_b32_e32 v1, v1, v0, vcc
	v_add_f32_e32 v4, v1, v1
	v_cmp_ngt_f32_e64 s[8:9], |v3|, |v4|
	v_and_b32_e32 v5, 0x7fffffff, v4
	s_and_b64 vcc, exec, s[8:9]
	s_cbranch_vccz .LBB1_95
; %bb.93:                               ;   in Loop: Header=BB1_67 Depth=2
	v_cmp_nlt_f32_e64 s[8:9], |v3|, |v4|
	s_and_b64 vcc, exec, s[8:9]
	s_cbranch_vccz .LBB1_99
; %bb.94:                               ;   in Loop: Header=BB1_67 Depth=2
	v_cvt_f64_f32_e32 v[6:7], v5
	v_mul_f64 v[6:7], v[6:7], s[16:17]
	v_cvt_f32_f64_e32 v0, v[6:7]
	s_cbranch_execz .LBB1_100
	s_branch .LBB1_101
.LBB1_95:                               ;   in Loop: Header=BB1_67 Depth=2
                                        ; implicit-def: $vgpr0
	s_branch .LBB1_102
.LBB1_96:                               ;   in Loop: Header=BB1_67 Depth=2
	v_mov_b32_e32 v0, v14
	v_mov_b32_e32 v7, v4
.LBB1_97:                               ;   in Loop: Header=BB1_67 Depth=2
	v_mul_f32_e32 v0, v1, v0
	global_store_dword v9, v0, s[48:49]
	v_add_f32_e32 v0, v13, v7
	s_add_i32 s35, s27, 1
	global_store_dword v9, v0, s[40:41]
	s_mov_b64 s[8:9], -1
	s_and_b64 vcc, exec, s[46:47]
	s_cbranch_vccnz .LBB1_92
.LBB1_98:                               ;   in Loop: Header=BB1_67 Depth=2
	s_mov_b32 s27, s35
	s_and_b64 vcc, exec, s[8:9]
	s_cbranch_vccz .LBB1_66
	s_branch .LBB1_113
.LBB1_99:                               ;   in Loop: Header=BB1_67 Depth=2
                                        ; implicit-def: $vgpr0
.LBB1_100:                              ;   in Loop: Header=BB1_67 Depth=2
	v_and_b32_e32 v0, 0x7fffffff, v3
	v_div_scale_f32 v6, s[8:9], v5, v5, v0
	v_rcp_f32_e32 v7, v6
	v_div_scale_f32 v0, vcc, v0, v5, v0
	v_fma_f32 v13, -v6, v7, 1.0
	v_fmac_f32_e32 v7, v13, v7
	v_mul_f32_e32 v13, v0, v7
	v_fma_f32 v14, -v6, v13, v0
	v_fmac_f32_e32 v13, v14, v7
	v_fma_f32 v0, -v6, v13, v0
	v_div_fmas_f32 v0, v0, v7, v13
	v_div_fixup_f32 v0, v0, |v4|, |v3|
	v_fma_f32 v0, v0, v0, 1.0
	v_mul_f32_e32 v6, 0x4f800000, v0
	v_cmp_gt_f32_e32 vcc, s70, v0
	s_nop 1
	v_cndmask_b32_e32 v0, v0, v6, vcc
	v_sqrt_f32_e32 v6, v0
	s_nop 0
	v_add_u32_e32 v7, -1, v6
	v_fma_f32 v13, -v7, v6, v0
	v_cmp_ge_f32_e64 s[8:9], 0, v13
	v_add_u32_e32 v13, 1, v6
	s_nop 0
	v_cndmask_b32_e64 v7, v6, v7, s[8:9]
	v_fma_f32 v6, -v13, v6, v0
	v_cmp_lt_f32_e64 s[8:9], 0, v6
	s_nop 1
	v_cndmask_b32_e64 v6, v7, v13, s[8:9]
	v_mul_f32_e32 v7, 0x37800000, v6
	v_cndmask_b32_e32 v6, v6, v7, vcc
	v_cmp_class_f32_e32 vcc, v0, v10
	s_nop 1
	v_cndmask_b32_e32 v0, v6, v0, vcc
	v_mul_f32_e64 v0, |v4|, v0
.LBB1_101:                              ;   in Loop: Header=BB1_67 Depth=2
	s_cbranch_execnz .LBB1_103
.LBB1_102:                              ;   in Loop: Header=BB1_67 Depth=2
	v_and_b32_e32 v0, 0x7fffffff, v3
	v_div_scale_f32 v6, s[8:9], v0, v0, v5
	v_rcp_f32_e32 v7, v6
	v_div_scale_f32 v0, vcc, v5, v0, v5
	v_fma_f32 v5, -v6, v7, 1.0
	v_fmac_f32_e32 v7, v5, v7
	v_mul_f32_e32 v5, v0, v7
	v_fma_f32 v13, -v6, v5, v0
	v_fmac_f32_e32 v5, v13, v7
	v_fma_f32 v0, -v6, v5, v0
	v_div_fmas_f32 v0, v0, v7, v5
	v_div_fixup_f32 v0, v0, |v3|, |v4|
	v_fma_f32 v0, v0, v0, 1.0
	v_mul_f32_e32 v4, 0x4f800000, v0
	v_cmp_gt_f32_e32 vcc, s70, v0
	s_nop 1
	v_cndmask_b32_e32 v0, v0, v4, vcc
	v_sqrt_f32_e32 v4, v0
	s_nop 0
	v_add_u32_e32 v5, -1, v4
	v_fma_f32 v6, -v5, v4, v0
	v_cmp_ge_f32_e64 s[8:9], 0, v6
	v_add_u32_e32 v6, 1, v4
	s_nop 0
	v_cndmask_b32_e64 v5, v4, v5, s[8:9]
	v_fma_f32 v4, -v6, v4, v0
	v_cmp_lt_f32_e64 s[8:9], 0, v4
	s_nop 1
	v_cndmask_b32_e64 v4, v5, v6, s[8:9]
	v_mul_f32_e32 v5, 0x37800000, v4
	v_cndmask_b32_e32 v4, v4, v5, vcc
	v_cmp_class_f32_e32 vcc, v0, v10
	s_nop 1
	v_cndmask_b32_e32 v0, v4, v0, vcc
	v_mul_f32_e64 v0, |v3|, v0
.LBB1_103:                              ;   in Loop: Header=BB1_67 Depth=2
	v_add_f32_e32 v5, v12, v2
	v_cmp_gt_f32_e64 vcc, |v12|, |v2|
	s_nop 1
	v_cndmask_b32_e32 v4, v12, v2, vcc
	v_cndmask_b32_e32 v6, v2, v12, vcc
	v_cmp_ngt_f32_e32 vcc, 0, v5
	s_cbranch_vccz .LBB1_106
; %bb.104:                              ;   in Loop: Header=BB1_67 Depth=2
	v_cmp_nlt_f32_e32 vcc, 0, v5
	s_cbranch_vccz .LBB1_107
; %bb.105:                              ;   in Loop: Header=BB1_67 Depth=2
	v_pk_mul_f32 v[2:3], v[0:1], s[18:19] op_sel_hi:[0,1]
	s_cbranch_execz .LBB1_108
	s_branch .LBB1_109
.LBB1_106:                              ;   in Loop: Header=BB1_67 Depth=2
                                        ; implicit-def: $vgpr3
	s_branch .LBB1_110
.LBB1_107:                              ;   in Loop: Header=BB1_67 Depth=2
                                        ; implicit-def: $vgpr3
.LBB1_108:                              ;   in Loop: Header=BB1_67 Depth=2
	v_add_f32_e32 v2, v5, v0
	v_mul_f32_e32 v2, 0.5, v2
	v_cvt_f64_f32_e32 v[12:13], v6
	v_cvt_f64_f32_e32 v[14:15], v2
	v_div_scale_f64 v[16:17], s[8:9], v[14:15], v[14:15], v[12:13]
	v_rcp_f64_e32 v[18:19], v[16:17]
	s_nop 0
	v_fma_f64 v[20:21], -v[16:17], v[18:19], 1.0
	v_fmac_f64_e32 v[18:19], v[18:19], v[20:21]
	v_fma_f64 v[20:21], -v[16:17], v[18:19], 1.0
	v_fmac_f64_e32 v[18:19], v[18:19], v[20:21]
	v_div_scale_f64 v[20:21], vcc, v[12:13], v[14:15], v[12:13]
	v_mul_f64 v[22:23], v[20:21], v[18:19]
	v_fma_f64 v[16:17], -v[16:17], v[22:23], v[20:21]
	v_cvt_f64_f32_e32 v[20:21], v1
	v_div_scale_f64 v[24:25], s[8:9], v[14:15], v[14:15], v[20:21]
	v_rcp_f64_e32 v[26:27], v[24:25]
	v_div_fmas_f64 v[16:17], v[16:17], v[18:19], v[22:23]
	v_div_fixup_f64 v[12:13], v[16:17], v[14:15], v[12:13]
	v_cvt_f64_f32_e32 v[16:17], v4
	v_fma_f64 v[18:19], -v[24:25], v[26:27], 1.0
	v_fmac_f64_e32 v[26:27], v[26:27], v[18:19]
	v_fma_f64 v[18:19], -v[24:25], v[26:27], 1.0
	v_fmac_f64_e32 v[26:27], v[26:27], v[18:19]
	v_div_scale_f64 v[18:19], vcc, v[20:21], v[14:15], v[20:21]
	v_mul_f64 v[22:23], v[18:19], v[26:27]
	v_fma_f64 v[18:19], -v[24:25], v[22:23], v[18:19]
	s_nop 1
	v_div_fmas_f64 v[18:19], v[18:19], v[26:27], v[22:23]
	v_div_fixup_f64 v[14:15], v[18:19], v[14:15], v[20:21]
	v_mul_f64 v[14:15], v[14:15], v[20:21]
	v_fma_f64 v[12:13], v[12:13], v[16:17], -v[14:15]
	v_cvt_f32_f64_e32 v3, v[12:13]
.LBB1_109:                              ;   in Loop: Header=BB1_67 Depth=2
	s_cbranch_execnz .LBB1_111
.LBB1_110:                              ;   in Loop: Header=BB1_67 Depth=2
	v_sub_f32_e32 v0, v5, v0
	v_mul_f32_e32 v2, 0.5, v0
	v_cvt_f64_f32_e32 v[6:7], v6
	v_cvt_f64_f32_e32 v[12:13], v2
	v_div_scale_f64 v[14:15], s[8:9], v[12:13], v[12:13], v[6:7]
	v_rcp_f64_e32 v[16:17], v[14:15]
	v_cvt_f64_f32_e32 v[0:1], v1
	v_cvt_f64_f32_e32 v[4:5], v4
	v_fma_f64 v[18:19], -v[14:15], v[16:17], 1.0
	v_fmac_f64_e32 v[16:17], v[16:17], v[18:19]
	v_fma_f64 v[18:19], -v[14:15], v[16:17], 1.0
	v_fmac_f64_e32 v[16:17], v[16:17], v[18:19]
	v_div_scale_f64 v[18:19], vcc, v[6:7], v[12:13], v[6:7]
	v_mul_f64 v[20:21], v[18:19], v[16:17]
	v_fma_f64 v[14:15], -v[14:15], v[20:21], v[18:19]
	v_div_scale_f64 v[18:19], s[8:9], v[12:13], v[12:13], v[0:1]
	v_rcp_f64_e32 v[22:23], v[18:19]
	v_div_fmas_f64 v[14:15], v[14:15], v[16:17], v[20:21]
	v_div_fixup_f64 v[6:7], v[14:15], v[12:13], v[6:7]
	v_fma_f64 v[14:15], -v[18:19], v[22:23], 1.0
	v_fmac_f64_e32 v[22:23], v[22:23], v[14:15]
	v_fma_f64 v[14:15], -v[18:19], v[22:23], 1.0
	v_fmac_f64_e32 v[22:23], v[22:23], v[14:15]
	v_div_scale_f64 v[14:15], vcc, v[0:1], v[12:13], v[0:1]
	v_mul_f64 v[16:17], v[14:15], v[22:23]
	v_fma_f64 v[14:15], -v[18:19], v[16:17], v[14:15]
	s_nop 1
	v_div_fmas_f64 v[14:15], v[14:15], v[22:23], v[16:17]
	v_div_fixup_f64 v[12:13], v[14:15], v[12:13], v[0:1]
	v_mul_f64 v[0:1], v[12:13], v[0:1]
	v_fma_f64 v[0:1], v[6:7], v[4:5], -v[0:1]
	v_cvt_f32_f64_e32 v3, v[0:1]
.LBB1_111:                              ;   in Loop: Header=BB1_67 Depth=2
	global_store_dword v9, v2, s[40:41]
	global_store_dword v9, v3, s[42:43]
	;; [unrolled: 1-line block ×3, first 2 shown]
	s_add_i32 s36, s36, 2
.LBB1_112:                              ;   in Loop: Header=BB1_67 Depth=2
	s_cbranch_execz .LBB1_66
.LBB1_113:                              ;   in Loop: Header=BB1_67 Depth=2
	s_cmp_gt_i32 s36, s25
	s_cselect_b64 s[8:9], -1, 0
	s_cmp_ge_i32 s27, s20
	s_cselect_b64 s[38:39], -1, 0
	s_or_b64 s[38:39], s[8:9], s[38:39]
	s_branch .LBB1_66
.LBB1_114:                              ;   in Loop: Header=BB1_115 Depth=2
	s_andn2_b64 vcc, exec, s[8:9]
	s_cbranch_vccz .LBB1_56
.LBB1_115:                              ;   Parent Loop BB1_3 Depth=1
                                        ; =>  This Loop Header: Depth=2
                                        ;       Child Loop BB1_117 Depth 3
                                        ;       Child Loop BB1_129 Depth 3
	s_ashr_i32 s35, s34, 31
	s_min_i32 s38, s25, s34
	s_lshl_b64 s[6:7], s[34:35], 2
	s_add_u32 s36, s63, s6
	s_addc_u32 s37, s64, s7
	s_add_u32 s8, s67, s6
	s_addc_u32 s9, s68, s7
	s_mov_b32 s27, s34
	s_mov_b64 s[40:41], -1
	s_cmp_le_i32 s27, s25
	s_mov_b64 s[42:43], -1
                                        ; implicit-def: $sgpr35
	s_cbranch_scc1 .LBB1_117
.LBB1_116:                              ;   in Loop: Header=BB1_115 Depth=2
	global_load_dwordx2 v[0:1], v9, s[36:37] offset:-4
	global_load_dword v2, v9, s[8:9] offset:-8
	s_add_i32 s35, s27, -1
	s_add_u32 s36, s36, -4
	s_addc_u32 s37, s37, -1
	s_add_u32 s8, s8, -4
	s_mov_b64 s[40:41], 0
	s_addc_u32 s9, s9, -1
	s_waitcnt vmcnt(1)
	v_mul_f32_e32 v0, v1, v0
	v_mul_f32_e64 v0, v8, |v0|
	s_waitcnt vmcnt(0)
	v_cmp_le_f32_e64 s[42:43], |v2|, v0
.LBB1_117:                              ;   Parent Loop BB1_3 Depth=1
                                        ;     Parent Loop BB1_115 Depth=2
                                        ; =>    This Inner Loop Header: Depth=3
	s_andn2_b64 vcc, exec, s[42:43]
	s_cbranch_vccz .LBB1_119
; %bb.118:                              ;   in Loop: Header=BB1_117 Depth=3
	s_mov_b32 s27, s35
	s_mov_b64 s[40:41], -1
	s_cmp_le_i32 s27, s25
	s_mov_b64 s[42:43], -1
                                        ; implicit-def: $sgpr35
	s_cbranch_scc0 .LBB1_116
	s_branch .LBB1_117
.LBB1_119:                              ;   in Loop: Header=BB1_115 Depth=2
	s_andn2_b64 vcc, exec, s[40:41]
	s_cbranch_vccz .LBB1_121
; %bb.120:                              ;   in Loop: Header=BB1_115 Depth=2
	s_mov_b32 s38, s27
	global_store_dword v9, v9, s[8:9] offset:-4
.LBB1_121:                              ;   in Loop: Header=BB1_115 Depth=2
	s_add_i32 s27, s34, -1
	s_cmp_eq_u32 s38, s34
	s_mov_b64 s[8:9], -1
	s_cbranch_scc1 .LBB1_137
; %bb.122:                              ;   in Loop: Header=BB1_115 Depth=2
	s_add_u32 s36, s56, s6
	s_addc_u32 s37, s57, s7
	global_load_dword v12, v9, s[36:37]
	s_cmp_lg_u32 s38, s27
	s_cbranch_scc0 .LBB1_138
; %bb.123:                              ;   in Loop: Header=BB1_115 Depth=2
	s_mov_b64 s[40:41], 0
	s_cmp_lg_u32 s73, s20
	s_mov_b32 s27, s20
	s_mov_b64 s[42:43], 0
	s_cbranch_scc0 .LBB1_139
; %bb.124:                              ;   in Loop: Header=BB1_115 Depth=2
	s_add_u32 s42, s14, s6
	s_addc_u32 s43, s15, s7
	global_load_dword v0, v9, s[42:43] offset:-4
	s_ashr_i32 s39, s38, 31
	s_lshl_b64 s[46:47], s[38:39], 2
	s_add_u32 s44, s56, s46
	s_addc_u32 s45, s57, s47
	global_load_dword v1, v9, s[44:45]
	global_load_dword v2, v9, s[36:37] offset:-4
	s_cmp_ge_i32 s38, s34
	s_waitcnt vmcnt(2)
	v_mul_f32_e32 v3, 0x4f800000, v0
	v_cmp_gt_f32_e32 vcc, s70, v0
	s_waitcnt vmcnt(0)
	v_sub_f32_e32 v2, v2, v12
	v_cndmask_b32_e32 v0, v0, v3, vcc
	v_sqrt_f32_e32 v3, v0
	s_nop 0
	v_add_u32_e32 v4, -1, v3
	v_add_u32_e32 v5, 1, v3
	v_fma_f32 v6, -v4, v3, v0
	v_fma_f32 v7, -v5, v3, v0
	v_cmp_ge_f32_e64 s[6:7], 0, v6
	s_nop 1
	v_cndmask_b32_e64 v3, v3, v4, s[6:7]
	v_cmp_lt_f32_e64 s[6:7], 0, v7
	s_nop 1
	v_cndmask_b32_e64 v3, v3, v5, s[6:7]
	v_mul_f32_e32 v4, 0x37800000, v3
	v_cndmask_b32_e32 v3, v3, v4, vcc
	v_cmp_class_f32_e32 vcc, v0, v10
	s_nop 1
	v_cndmask_b32_e32 v0, v3, v0, vcc
	v_add_f32_e32 v3, v0, v0
	v_div_scale_f32 v4, s[6:7], v3, v3, v2
	v_rcp_f32_e32 v5, v4
	v_div_scale_f32 v6, vcc, v2, v3, v2
	v_fma_f32 v7, -v4, v5, 1.0
	v_fmac_f32_e32 v5, v7, v5
	v_mul_f32_e32 v7, v6, v5
	v_fma_f32 v13, -v4, v7, v6
	v_fmac_f32_e32 v7, v13, v5
	v_fma_f32 v4, -v4, v7, v6
	v_div_fmas_f32 v4, v4, v5, v7
	v_div_fixup_f32 v2, v4, v3, v2
	v_fma_f32 v3, v2, v2, 1.0
	v_mul_f32_e32 v4, 0x4f800000, v3
	v_cmp_gt_f32_e32 vcc, s70, v3
	s_nop 1
	v_cndmask_b32_e32 v3, v3, v4, vcc
	v_sqrt_f32_e32 v4, v3
	s_nop 0
	v_add_u32_e32 v5, -1, v4
	v_add_u32_e32 v6, 1, v4
	v_fma_f32 v7, -v5, v4, v3
	v_fma_f32 v13, -v6, v4, v3
	v_cmp_ge_f32_e64 s[6:7], 0, v7
	s_nop 1
	v_cndmask_b32_e64 v4, v4, v5, s[6:7]
	v_cmp_lt_f32_e64 s[6:7], 0, v13
	s_nop 1
	v_cndmask_b32_e64 v4, v4, v6, s[6:7]
	v_mul_f32_e32 v5, 0x37800000, v4
	v_cndmask_b32_e32 v4, v4, v5, vcc
	v_cmp_class_f32_e32 vcc, v3, v10
	s_nop 1
	v_cndmask_b32_e32 v3, v4, v3, vcc
	v_cmp_nle_f32_e32 vcc, 0, v2
	s_nop 1
	v_cndmask_b32_e64 v3, |v3|, -|v3|, vcc
	v_add_f32_e32 v2, v2, v3
	v_div_scale_f32 v3, s[6:7], v2, v2, v0
	v_rcp_f32_e32 v4, v3
	v_div_scale_f32 v5, vcc, v0, v2, v0
	v_fma_f32 v6, -v3, v4, 1.0
	v_fmac_f32_e32 v4, v6, v4
	v_mul_f32_e32 v6, v5, v4
	v_fma_f32 v7, -v3, v6, v5
	v_fmac_f32_e32 v6, v7, v4
	v_fma_f32 v3, -v3, v6, v5
	v_div_fmas_f32 v3, v3, v4, v6
	v_div_fixup_f32 v0, v3, v2, v0
	v_sub_f32_e32 v13, v12, v0
	v_sub_f32_e32 v7, v1, v13
	v_mul_f32_e32 v0, v7, v7
	v_mov_b32_e32 v1, 0
	s_cbranch_scc1 .LBB1_145
; %bb.125:                              ;   in Loop: Header=BB1_115 Depth=2
	s_add_u32 s6, s14, s46
	s_addc_u32 s7, s15, s47
	global_load_dword v14, v9, s[6:7]
	global_load_dword v15, v9, s[44:45] offset:4
	s_waitcnt vmcnt(1)
	v_add_f32_e32 v2, v0, v14
	v_div_scale_f32 v1, s[6:7], v2, v2, v14
	v_div_scale_f32 v4, s[6:7], v2, v2, v0
	v_rcp_f32_e32 v5, v1
	v_rcp_f32_e32 v16, v4
	v_div_scale_f32 v3, vcc, v14, v2, v14
	v_fma_f32 v18, -v1, v5, 1.0
	v_fma_f32 v19, -v4, v16, 1.0
	v_fmac_f32_e32 v5, v18, v5
	v_div_scale_f32 v17, s[6:7], v0, v2, v0
	v_fmac_f32_e32 v16, v19, v16
	v_mul_f32_e32 v18, v3, v5
	v_mul_f32_e32 v19, v17, v16
	v_fma_f32 v20, -v1, v18, v3
	v_fma_f32 v21, -v4, v19, v17
	v_fmac_f32_e32 v18, v20, v5
	v_fmac_f32_e32 v19, v21, v16
	v_fma_f32 v1, -v1, v18, v3
	v_fma_f32 v3, -v4, v19, v17
	v_div_fmas_f32 v1, v1, v5, v18
	s_mov_b64 vcc, s[6:7]
	v_div_fixup_f32 v1, v1, v2, v14
	v_div_fmas_f32 v3, v3, v16, v19
	s_waitcnt vmcnt(0)
	v_sub_f32_e32 v6, v15, v13
	v_div_fixup_f32 v2, v3, v2, v0
	v_mov_b32_e32 v3, v1
	v_mul_f32_e32 v0, v7, v1
	v_pk_fma_f32 v[4:5], v[6:7], v[2:3], v[0:1] op_sel_hi:[1,1,0] neg_lo:[0,0,1] neg_hi:[0,0,1]
	v_cmp_eq_f32_e32 vcc, 0, v2
	v_sub_f32_e32 v0, v15, v4
	v_add_f32_e32 v0, v7, v0
	global_store_dword v9, v0, s[44:45]
	s_cbranch_vccnz .LBB1_127
; %bb.126:                              ;   in Loop: Header=BB1_115 Depth=2
	v_mul_f32_e32 v0, v4, v4
	v_div_scale_f32 v3, s[6:7], v2, v2, v0
	v_rcp_f32_e32 v5, v3
	v_div_scale_f32 v6, vcc, v0, v2, v0
	v_fma_f32 v7, -v3, v5, 1.0
	v_fmac_f32_e32 v5, v7, v5
	v_mul_f32_e32 v7, v6, v5
	v_fma_f32 v14, -v3, v7, v6
	v_fmac_f32_e32 v7, v14, v5
	v_fma_f32 v3, -v3, v7, v6
	v_div_fmas_f32 v3, v3, v5, v7
	v_div_fixup_f32 v14, v3, v2, v0
.LBB1_127:                              ;   in Loop: Header=BB1_115 Depth=2
	s_add_i32 s6, s38, 1
	s_cmp_ge_i32 s6, s34
	s_cbranch_scc1 .LBB1_144
; %bb.128:                              ;   in Loop: Header=BB1_115 Depth=2
	s_ashr_i32 s7, s6, 31
	s_lshl_b64 s[6:7], s[6:7], 2
	s_add_u32 s44, s59, s6
	s_addc_u32 s45, s60, s7
	s_add_u32 s46, s65, s6
	s_addc_u32 s47, s66, s7
	s_mov_b32 s27, 1
.LBB1_129:                              ;   Parent Loop BB1_3 Depth=1
                                        ;     Parent Loop BB1_115 Depth=2
                                        ; =>    This Inner Loop Header: Depth=3
	global_load_dword v3, v9, s[44:45]
	v_mov_b32_e32 v7, v4
	s_cmp_eq_u32 s27, 0
	s_waitcnt vmcnt(0)
	v_add_f32_e32 v0, v14, v3
	s_cbranch_scc1 .LBB1_131
; %bb.130:                              ;   in Loop: Header=BB1_129 Depth=3
	v_mul_f32_e32 v1, v1, v0
	global_store_dword v9, v1, s[44:45] offset:-4
.LBB1_131:                              ;   in Loop: Header=BB1_129 Depth=3
	global_load_dword v15, v9, s[46:47]
	v_div_scale_f32 v1, s[6:7], v0, v0, v3
	v_div_scale_f32 v5, s[6:7], v0, v0, v14
	v_rcp_f32_e32 v6, v1
	v_rcp_f32_e32 v16, v5
	v_div_scale_f32 v4, vcc, v3, v0, v3
	v_fma_f32 v18, -v1, v6, 1.0
	v_fma_f32 v19, -v5, v16, 1.0
	v_fmac_f32_e32 v6, v18, v6
	v_div_scale_f32 v17, s[6:7], v14, v0, v14
	v_fmac_f32_e32 v16, v19, v16
	v_mul_f32_e32 v18, v4, v6
	v_mul_f32_e32 v19, v17, v16
	v_fma_f32 v20, -v1, v18, v4
	v_fma_f32 v21, -v5, v19, v17
	v_fmac_f32_e32 v18, v20, v6
	v_fmac_f32_e32 v19, v21, v16
	v_fma_f32 v1, -v1, v18, v4
	v_fma_f32 v4, -v5, v19, v17
	v_div_fmas_f32 v1, v1, v6, v18
	s_mov_b64 vcc, s[6:7]
	v_div_fixup_f32 v1, v1, v0, v3
	v_div_fmas_f32 v4, v4, v16, v19
	v_div_fixup_f32 v0, v4, v0, v14
	v_mul_f32_e32 v4, v7, v1
	v_cmp_eq_f32_e32 vcc, 0, v0
	s_and_b64 vcc, exec, vcc
	s_waitcnt vmcnt(0)
	v_sub_f32_e32 v6, v15, v13
	v_pk_fma_f32 v[4:5], v[6:7], v[0:1], v[4:5] op_sel_hi:[1,1,0] neg_lo:[0,0,1] neg_hi:[0,0,1]
	s_nop 0
	v_sub_f32_e32 v5, v15, v4
	v_add_f32_e32 v5, v7, v5
	global_store_dword v9, v5, s[46:47] offset:-4
	s_cbranch_vccz .LBB1_136
; %bb.132:                              ;   in Loop: Header=BB1_129 Depth=3
	v_mul_f32_e32 v14, v2, v3
	s_cbranch_execnz .LBB1_134
.LBB1_133:                              ;   in Loop: Header=BB1_129 Depth=3
	v_mul_f32_e32 v2, v4, v4
	v_div_scale_f32 v3, s[6:7], v0, v0, v2
	v_rcp_f32_e32 v5, v3
	v_div_scale_f32 v6, vcc, v2, v0, v2
	v_fma_f32 v7, -v3, v5, 1.0
	v_fmac_f32_e32 v5, v7, v5
	v_mul_f32_e32 v7, v6, v5
	v_fma_f32 v14, -v3, v7, v6
	v_fmac_f32_e32 v7, v14, v5
	v_fma_f32 v3, -v3, v7, v6
	v_div_fmas_f32 v3, v3, v5, v7
	v_div_fixup_f32 v14, v3, v0, v2
.LBB1_134:                              ;   in Loop: Header=BB1_129 Depth=3
	s_add_i32 s27, s27, 1
	s_add_i32 s6, s38, s27
	s_add_u32 s44, s44, 4
	s_addc_u32 s45, s45, 0
	s_add_u32 s46, s46, 4
	s_addc_u32 s47, s47, 0
	s_cmp_ge_i32 s6, s34
	s_cbranch_scc1 .LBB1_144
; %bb.135:                              ;   in Loop: Header=BB1_129 Depth=3
	v_mov_b32_e32 v2, v0
	s_branch .LBB1_129
.LBB1_136:                              ;   in Loop: Header=BB1_129 Depth=3
                                        ; implicit-def: $vgpr14
	s_branch .LBB1_133
.LBB1_137:                              ;   in Loop: Header=BB1_115 Depth=2
	s_mov_b32 s34, s27
	s_branch .LBB1_160
.LBB1_138:                              ;   in Loop: Header=BB1_115 Depth=2
	s_mov_b64 s[40:41], -1
	s_mov_b64 s[42:43], 0
                                        ; implicit-def: $sgpr27
.LBB1_139:                              ;   in Loop: Header=BB1_115 Depth=2
	s_and_b64 vcc, exec, s[40:41]
	s_cbranch_vccz .LBB1_146
.LBB1_140:                              ;   in Loop: Header=BB1_115 Depth=2
	s_ashr_i32 s39, s38, 31
	s_lshl_b64 s[6:7], s[38:39], 2
	s_add_u32 s38, s14, s6
	s_addc_u32 s39, s15, s7
	global_load_dword v0, v9, s[38:39]
	s_add_u32 s40, s56, s6
	s_addc_u32 s41, s57, s7
	global_load_dword v2, v9, s[40:41]
	s_waitcnt vmcnt(1)
	v_mul_f32_e32 v1, 0x4f800000, v0
	v_cmp_gt_f32_e32 vcc, s70, v0
	s_waitcnt vmcnt(0)
	v_sub_f32_e32 v3, v12, v2
	v_cndmask_b32_e32 v0, v0, v1, vcc
	v_sqrt_f32_e32 v1, v0
	s_nop 0
	v_add_u32_e32 v4, -1, v1
	v_add_u32_e32 v5, 1, v1
	v_fma_f32 v6, -v4, v1, v0
	v_fma_f32 v7, -v5, v1, v0
	v_cmp_ge_f32_e64 s[6:7], 0, v6
	s_nop 1
	v_cndmask_b32_e64 v1, v1, v4, s[6:7]
	v_cmp_lt_f32_e64 s[6:7], 0, v7
	s_nop 1
	v_cndmask_b32_e64 v1, v1, v5, s[6:7]
	v_mul_f32_e32 v4, 0x37800000, v1
	v_cndmask_b32_e32 v1, v1, v4, vcc
	v_cmp_class_f32_e32 vcc, v0, v10
	s_nop 1
	v_cndmask_b32_e32 v1, v1, v0, vcc
	v_add_f32_e32 v4, v1, v1
	v_cmp_ngt_f32_e64 s[6:7], |v3|, |v4|
	v_and_b32_e32 v5, 0x7fffffff, v4
	s_and_b64 vcc, exec, s[6:7]
	s_cbranch_vccz .LBB1_143
; %bb.141:                              ;   in Loop: Header=BB1_115 Depth=2
	v_cmp_nlt_f32_e64 s[6:7], |v3|, |v4|
	s_and_b64 vcc, exec, s[6:7]
	s_cbranch_vccz .LBB1_147
; %bb.142:                              ;   in Loop: Header=BB1_115 Depth=2
	v_cvt_f64_f32_e32 v[6:7], v5
	v_mul_f64 v[6:7], v[6:7], s[16:17]
	v_cvt_f32_f64_e32 v0, v[6:7]
	s_cbranch_execz .LBB1_148
	s_branch .LBB1_149
.LBB1_143:                              ;   in Loop: Header=BB1_115 Depth=2
                                        ; implicit-def: $vgpr0
	s_branch .LBB1_150
.LBB1_144:                              ;   in Loop: Header=BB1_115 Depth=2
	v_mov_b32_e32 v7, v4
	v_mov_b32_e32 v0, v14
.LBB1_145:                              ;   in Loop: Header=BB1_115 Depth=2
	v_mul_f32_e32 v0, v0, v1
	global_store_dword v9, v0, s[42:43] offset:-4
	v_add_f32_e32 v0, v13, v7
	s_add_i32 s27, s73, 1
	global_store_dword v9, v0, s[36:37]
	s_mov_b64 s[42:43], -1
	s_and_b64 vcc, exec, s[40:41]
	s_cbranch_vccnz .LBB1_140
.LBB1_146:                              ;   in Loop: Header=BB1_115 Depth=2
	s_mov_b32 s73, s27
	s_and_b64 vcc, exec, s[42:43]
	s_cbranch_vccz .LBB1_114
	s_branch .LBB1_161
.LBB1_147:                              ;   in Loop: Header=BB1_115 Depth=2
                                        ; implicit-def: $vgpr0
.LBB1_148:                              ;   in Loop: Header=BB1_115 Depth=2
	v_and_b32_e32 v0, 0x7fffffff, v3
	v_div_scale_f32 v6, s[6:7], v5, v5, v0
	v_rcp_f32_e32 v7, v6
	v_div_scale_f32 v0, vcc, v0, v5, v0
	v_fma_f32 v13, -v6, v7, 1.0
	v_fmac_f32_e32 v7, v13, v7
	v_mul_f32_e32 v13, v0, v7
	v_fma_f32 v14, -v6, v13, v0
	v_fmac_f32_e32 v13, v14, v7
	v_fma_f32 v0, -v6, v13, v0
	v_div_fmas_f32 v0, v0, v7, v13
	v_div_fixup_f32 v0, v0, |v4|, |v3|
	v_fma_f32 v0, v0, v0, 1.0
	v_mul_f32_e32 v6, 0x4f800000, v0
	v_cmp_gt_f32_e32 vcc, s70, v0
	s_nop 1
	v_cndmask_b32_e32 v0, v0, v6, vcc
	v_sqrt_f32_e32 v6, v0
	s_nop 0
	v_add_u32_e32 v7, -1, v6
	v_fma_f32 v13, -v7, v6, v0
	v_cmp_ge_f32_e64 s[6:7], 0, v13
	v_add_u32_e32 v13, 1, v6
	s_nop 0
	v_cndmask_b32_e64 v7, v6, v7, s[6:7]
	v_fma_f32 v6, -v13, v6, v0
	v_cmp_lt_f32_e64 s[6:7], 0, v6
	s_nop 1
	v_cndmask_b32_e64 v6, v7, v13, s[6:7]
	v_mul_f32_e32 v7, 0x37800000, v6
	v_cndmask_b32_e32 v6, v6, v7, vcc
	v_cmp_class_f32_e32 vcc, v0, v10
	s_nop 1
	v_cndmask_b32_e32 v0, v6, v0, vcc
	v_mul_f32_e64 v0, |v4|, v0
.LBB1_149:                              ;   in Loop: Header=BB1_115 Depth=2
	s_cbranch_execnz .LBB1_151
.LBB1_150:                              ;   in Loop: Header=BB1_115 Depth=2
	v_and_b32_e32 v0, 0x7fffffff, v3
	v_div_scale_f32 v6, s[6:7], v0, v0, v5
	v_rcp_f32_e32 v7, v6
	v_div_scale_f32 v0, vcc, v5, v0, v5
	v_fma_f32 v5, -v6, v7, 1.0
	v_fmac_f32_e32 v7, v5, v7
	v_mul_f32_e32 v5, v0, v7
	v_fma_f32 v13, -v6, v5, v0
	v_fmac_f32_e32 v5, v13, v7
	v_fma_f32 v0, -v6, v5, v0
	v_div_fmas_f32 v0, v0, v7, v5
	v_div_fixup_f32 v0, v0, |v3|, |v4|
	v_fma_f32 v0, v0, v0, 1.0
	v_mul_f32_e32 v4, 0x4f800000, v0
	v_cmp_gt_f32_e32 vcc, s70, v0
	s_nop 1
	v_cndmask_b32_e32 v0, v0, v4, vcc
	v_sqrt_f32_e32 v4, v0
	s_nop 0
	v_add_u32_e32 v5, -1, v4
	v_fma_f32 v6, -v5, v4, v0
	v_cmp_ge_f32_e64 s[6:7], 0, v6
	v_add_u32_e32 v6, 1, v4
	s_nop 0
	v_cndmask_b32_e64 v5, v4, v5, s[6:7]
	v_fma_f32 v4, -v6, v4, v0
	v_cmp_lt_f32_e64 s[6:7], 0, v4
	s_nop 1
	v_cndmask_b32_e64 v4, v5, v6, s[6:7]
	v_mul_f32_e32 v5, 0x37800000, v4
	v_cndmask_b32_e32 v4, v4, v5, vcc
	v_cmp_class_f32_e32 vcc, v0, v10
	s_nop 1
	v_cndmask_b32_e32 v0, v4, v0, vcc
	v_mul_f32_e64 v0, |v3|, v0
.LBB1_151:                              ;   in Loop: Header=BB1_115 Depth=2
	v_add_f32_e32 v5, v12, v2
	v_cmp_gt_f32_e64 vcc, |v12|, |v2|
	s_nop 1
	v_cndmask_b32_e32 v4, v12, v2, vcc
	v_cndmask_b32_e32 v6, v2, v12, vcc
	v_cmp_ngt_f32_e32 vcc, 0, v5
	s_cbranch_vccz .LBB1_154
; %bb.152:                              ;   in Loop: Header=BB1_115 Depth=2
	v_cmp_nlt_f32_e32 vcc, 0, v5
	s_cbranch_vccz .LBB1_155
; %bb.153:                              ;   in Loop: Header=BB1_115 Depth=2
	v_pk_mul_f32 v[2:3], v[0:1], s[18:19] op_sel_hi:[0,1]
	s_cbranch_execz .LBB1_156
	s_branch .LBB1_157
.LBB1_154:                              ;   in Loop: Header=BB1_115 Depth=2
                                        ; implicit-def: $vgpr3
	s_branch .LBB1_158
.LBB1_155:                              ;   in Loop: Header=BB1_115 Depth=2
                                        ; implicit-def: $vgpr3
.LBB1_156:                              ;   in Loop: Header=BB1_115 Depth=2
	v_add_f32_e32 v2, v5, v0
	v_mul_f32_e32 v2, 0.5, v2
	v_cvt_f64_f32_e32 v[12:13], v6
	v_cvt_f64_f32_e32 v[14:15], v2
	v_div_scale_f64 v[16:17], s[6:7], v[14:15], v[14:15], v[12:13]
	v_rcp_f64_e32 v[18:19], v[16:17]
	s_nop 0
	v_fma_f64 v[20:21], -v[16:17], v[18:19], 1.0
	v_fmac_f64_e32 v[18:19], v[18:19], v[20:21]
	v_fma_f64 v[20:21], -v[16:17], v[18:19], 1.0
	v_fmac_f64_e32 v[18:19], v[18:19], v[20:21]
	v_div_scale_f64 v[20:21], vcc, v[12:13], v[14:15], v[12:13]
	v_mul_f64 v[22:23], v[20:21], v[18:19]
	v_fma_f64 v[16:17], -v[16:17], v[22:23], v[20:21]
	v_cvt_f64_f32_e32 v[20:21], v1
	v_div_scale_f64 v[24:25], s[6:7], v[14:15], v[14:15], v[20:21]
	v_rcp_f64_e32 v[26:27], v[24:25]
	v_div_fmas_f64 v[16:17], v[16:17], v[18:19], v[22:23]
	v_div_fixup_f64 v[12:13], v[16:17], v[14:15], v[12:13]
	v_cvt_f64_f32_e32 v[16:17], v4
	v_fma_f64 v[18:19], -v[24:25], v[26:27], 1.0
	v_fmac_f64_e32 v[26:27], v[26:27], v[18:19]
	v_fma_f64 v[18:19], -v[24:25], v[26:27], 1.0
	v_fmac_f64_e32 v[26:27], v[26:27], v[18:19]
	v_div_scale_f64 v[18:19], vcc, v[20:21], v[14:15], v[20:21]
	v_mul_f64 v[22:23], v[18:19], v[26:27]
	v_fma_f64 v[18:19], -v[24:25], v[22:23], v[18:19]
	s_nop 1
	v_div_fmas_f64 v[18:19], v[18:19], v[26:27], v[22:23]
	v_div_fixup_f64 v[14:15], v[18:19], v[14:15], v[20:21]
	v_mul_f64 v[14:15], v[14:15], v[20:21]
	v_fma_f64 v[12:13], v[12:13], v[16:17], -v[14:15]
	v_cvt_f32_f64_e32 v3, v[12:13]
.LBB1_157:                              ;   in Loop: Header=BB1_115 Depth=2
	s_cbranch_execnz .LBB1_159
.LBB1_158:                              ;   in Loop: Header=BB1_115 Depth=2
	v_sub_f32_e32 v0, v5, v0
	v_mul_f32_e32 v2, 0.5, v0
	v_cvt_f64_f32_e32 v[6:7], v6
	v_cvt_f64_f32_e32 v[12:13], v2
	v_div_scale_f64 v[14:15], s[6:7], v[12:13], v[12:13], v[6:7]
	v_rcp_f64_e32 v[16:17], v[14:15]
	v_cvt_f64_f32_e32 v[0:1], v1
	v_cvt_f64_f32_e32 v[4:5], v4
	v_fma_f64 v[18:19], -v[14:15], v[16:17], 1.0
	v_fmac_f64_e32 v[16:17], v[16:17], v[18:19]
	v_fma_f64 v[18:19], -v[14:15], v[16:17], 1.0
	v_fmac_f64_e32 v[16:17], v[16:17], v[18:19]
	v_div_scale_f64 v[18:19], vcc, v[6:7], v[12:13], v[6:7]
	v_mul_f64 v[20:21], v[18:19], v[16:17]
	v_fma_f64 v[14:15], -v[14:15], v[20:21], v[18:19]
	v_div_scale_f64 v[18:19], s[6:7], v[12:13], v[12:13], v[0:1]
	v_rcp_f64_e32 v[22:23], v[18:19]
	v_div_fmas_f64 v[14:15], v[14:15], v[16:17], v[20:21]
	v_div_fixup_f64 v[6:7], v[14:15], v[12:13], v[6:7]
	v_fma_f64 v[14:15], -v[18:19], v[22:23], 1.0
	v_fmac_f64_e32 v[22:23], v[22:23], v[14:15]
	v_fma_f64 v[14:15], -v[18:19], v[22:23], 1.0
	v_fmac_f64_e32 v[22:23], v[22:23], v[14:15]
	v_div_scale_f64 v[14:15], vcc, v[0:1], v[12:13], v[0:1]
	v_mul_f64 v[16:17], v[14:15], v[22:23]
	v_fma_f64 v[14:15], -v[18:19], v[16:17], v[14:15]
	s_nop 1
	v_div_fmas_f64 v[14:15], v[14:15], v[22:23], v[16:17]
	v_div_fixup_f64 v[12:13], v[14:15], v[12:13], v[0:1]
	v_mul_f64 v[0:1], v[12:13], v[0:1]
	v_fma_f64 v[0:1], v[6:7], v[4:5], -v[0:1]
	v_cvt_f32_f64_e32 v3, v[0:1]
.LBB1_159:                              ;   in Loop: Header=BB1_115 Depth=2
	global_store_dword v9, v2, s[36:37]
	global_store_dword v9, v3, s[40:41]
	;; [unrolled: 1-line block ×3, first 2 shown]
	s_add_i32 s34, s34, -2
.LBB1_160:                              ;   in Loop: Header=BB1_115 Depth=2
	s_cbranch_execz .LBB1_114
.LBB1_161:                              ;   in Loop: Header=BB1_115 Depth=2
	s_cmp_lt_i32 s34, s25
	s_cselect_b64 s[6:7], -1, 0
	s_cmp_ge_i32 s73, s20
	s_cselect_b64 s[8:9], -1, 0
	s_or_b64 s[8:9], s[6:7], s[8:9]
	s_branch .LBB1_114
.LBB1_162:
	s_cmp_lt_i32 s33, 2
	s_cbranch_scc1 .LBB1_173
; %bb.163:
	s_load_dwordx2 s[0:1], s[0:1], 0x28
	s_lshl_b64 s[4:5], s[2:3], 2
	s_mov_b32 s2, 1
	v_mov_b32_e32 v0, 0
	s_waitcnt lgkmcnt(0)
	s_add_u32 s0, s0, s4
	s_addc_u32 s1, s1, s5
	s_branch .LBB1_165
.LBB1_164:                              ;   in Loop: Header=BB1_165 Depth=1
	s_add_i32 s2, s2, 1
	s_add_u32 s14, s14, 4
	s_addc_u32 s15, s15, 0
	s_cmp_lg_u32 s33, s2
	s_cbranch_scc0 .LBB1_167
.LBB1_165:                              ; =>This Inner Loop Header: Depth=1
	global_load_dword v1, v0, s[14:15]
	s_waitcnt vmcnt(0)
	v_cmp_eq_f32_e32 vcc, 0, v1
	s_cbranch_vccnz .LBB1_164
; %bb.166:                              ;   in Loop: Header=BB1_165 Depth=1
	global_load_dword v1, v0, s[0:1]
	s_waitcnt vmcnt(0)
	v_add_u32_e32 v1, 1, v1
	global_store_dword v0, v1, s[0:1]
	s_branch .LBB1_164
.LBB1_167:
	s_add_u32 s0, s12, s10
	s_addc_u32 s1, s13, s11
	s_add_u32 s0, s0, 4
	s_addc_u32 s1, s1, 0
	s_mov_b32 s2, 1
	v_mov_b32_e32 v0, 0
	s_branch .LBB1_169
.LBB1_168:                              ;   in Loop: Header=BB1_169 Depth=1
	s_add_i32 s2, s2, 1
	s_add_u32 s0, s0, 4
	s_addc_u32 s1, s1, 0
	s_cmp_lg_u32 s2, s33
	s_cbranch_scc0 .LBB1_173
.LBB1_169:                              ; =>This Loop Header: Depth=1
                                        ;     Child Loop BB1_170 Depth 2
	s_ashr_i32 s3, s2, 31
	s_add_i32 s7, s2, -1
	s_lshl_b64 s[4:5], s[2:3], 2
	s_add_u32 s4, s56, s4
	s_addc_u32 s5, s57, s5
	global_load_dword v1, v0, s[4:5] offset:-4
	s_mov_b64 s[8:9], s[0:1]
	s_mov_b32 s3, s2
	s_mov_b32 s6, s7
	s_waitcnt vmcnt(0)
	v_mov_b32_e32 v2, v1
.LBB1_170:                              ;   Parent Loop BB1_169 Depth=1
                                        ; =>  This Inner Loop Header: Depth=2
	global_load_dword v3, v0, s[8:9]
	s_waitcnt vmcnt(0)
	v_cmp_lt_f32_e32 vcc, v3, v2
	s_and_b64 s[10:11], vcc, exec
	s_cselect_b32 s6, s3, s6
	s_add_i32 s3, s3, 1
	s_add_u32 s8, s8, 4
	s_addc_u32 s9, s9, 0
	v_cndmask_b32_e32 v2, v2, v3, vcc
	s_cmp_eq_u32 s33, s3
	s_cbranch_scc0 .LBB1_170
; %bb.171:                              ;   in Loop: Header=BB1_169 Depth=1
	s_cmp_lg_u32 s6, s7
	s_cbranch_scc0 .LBB1_168
; %bb.172:                              ;   in Loop: Header=BB1_169 Depth=1
	s_ashr_i32 s7, s6, 31
	s_lshl_b64 s[6:7], s[6:7], 2
	s_add_u32 s6, s56, s6
	s_addc_u32 s7, s57, s7
	global_store_dword v0, v1, s[6:7]
	global_store_dword v0, v2, s[4:5] offset:-4
	s_branch .LBB1_168
.LBB1_173:
	s_endpgm
	.section	.rodata,"a",@progbits
	.p2align	6, 0x0
	.amdhsa_kernel _ZN9rocsolver6v33100L12sterf_kernelIfEEviPT_lS3_lPiS4_iS2_S2_S2_
		.amdhsa_group_segment_fixed_size 0
		.amdhsa_private_segment_fixed_size 0
		.amdhsa_kernarg_size 72
		.amdhsa_user_sgpr_count 2
		.amdhsa_user_sgpr_dispatch_ptr 0
		.amdhsa_user_sgpr_queue_ptr 0
		.amdhsa_user_sgpr_kernarg_segment_ptr 1
		.amdhsa_user_sgpr_dispatch_id 0
		.amdhsa_user_sgpr_kernarg_preload_length 0
		.amdhsa_user_sgpr_kernarg_preload_offset 0
		.amdhsa_user_sgpr_private_segment_size 0
		.amdhsa_uses_dynamic_stack 0
		.amdhsa_enable_private_segment 0
		.amdhsa_system_sgpr_workgroup_id_x 1
		.amdhsa_system_sgpr_workgroup_id_y 0
		.amdhsa_system_sgpr_workgroup_id_z 0
		.amdhsa_system_sgpr_workgroup_info 0
		.amdhsa_system_vgpr_workitem_id 0
		.amdhsa_next_free_vgpr 28
		.amdhsa_next_free_sgpr 74
		.amdhsa_accum_offset 28
		.amdhsa_reserve_vcc 1
		.amdhsa_float_round_mode_32 0
		.amdhsa_float_round_mode_16_64 0
		.amdhsa_float_denorm_mode_32 3
		.amdhsa_float_denorm_mode_16_64 3
		.amdhsa_dx10_clamp 1
		.amdhsa_ieee_mode 1
		.amdhsa_fp16_overflow 0
		.amdhsa_tg_split 0
		.amdhsa_exception_fp_ieee_invalid_op 0
		.amdhsa_exception_fp_denorm_src 0
		.amdhsa_exception_fp_ieee_div_zero 0
		.amdhsa_exception_fp_ieee_overflow 0
		.amdhsa_exception_fp_ieee_underflow 0
		.amdhsa_exception_fp_ieee_inexact 0
		.amdhsa_exception_int_div_zero 0
	.end_amdhsa_kernel
	.section	.text._ZN9rocsolver6v33100L12sterf_kernelIfEEviPT_lS3_lPiS4_iS2_S2_S2_,"axG",@progbits,_ZN9rocsolver6v33100L12sterf_kernelIfEEviPT_lS3_lPiS4_iS2_S2_S2_,comdat
.Lfunc_end1:
	.size	_ZN9rocsolver6v33100L12sterf_kernelIfEEviPT_lS3_lPiS4_iS2_S2_S2_, .Lfunc_end1-_ZN9rocsolver6v33100L12sterf_kernelIfEEviPT_lS3_lPiS4_iS2_S2_S2_
                                        ; -- End function
	.set _ZN9rocsolver6v33100L12sterf_kernelIfEEviPT_lS3_lPiS4_iS2_S2_S2_.num_vgpr, 28
	.set _ZN9rocsolver6v33100L12sterf_kernelIfEEviPT_lS3_lPiS4_iS2_S2_S2_.num_agpr, 0
	.set _ZN9rocsolver6v33100L12sterf_kernelIfEEviPT_lS3_lPiS4_iS2_S2_S2_.numbered_sgpr, 74
	.set _ZN9rocsolver6v33100L12sterf_kernelIfEEviPT_lS3_lPiS4_iS2_S2_S2_.num_named_barrier, 0
	.set _ZN9rocsolver6v33100L12sterf_kernelIfEEviPT_lS3_lPiS4_iS2_S2_S2_.private_seg_size, 0
	.set _ZN9rocsolver6v33100L12sterf_kernelIfEEviPT_lS3_lPiS4_iS2_S2_S2_.uses_vcc, 1
	.set _ZN9rocsolver6v33100L12sterf_kernelIfEEviPT_lS3_lPiS4_iS2_S2_S2_.uses_flat_scratch, 0
	.set _ZN9rocsolver6v33100L12sterf_kernelIfEEviPT_lS3_lPiS4_iS2_S2_S2_.has_dyn_sized_stack, 0
	.set _ZN9rocsolver6v33100L12sterf_kernelIfEEviPT_lS3_lPiS4_iS2_S2_S2_.has_recursion, 0
	.set _ZN9rocsolver6v33100L12sterf_kernelIfEEviPT_lS3_lPiS4_iS2_S2_S2_.has_indirect_call, 0
	.section	.AMDGPU.csdata,"",@progbits
; Kernel info:
; codeLenInByte = 8236
; TotalNumSgprs: 80
; NumVgprs: 28
; NumAgprs: 0
; TotalNumVgprs: 28
; ScratchSize: 0
; MemoryBound: 0
; FloatMode: 240
; IeeeMode: 1
; LDSByteSize: 0 bytes/workgroup (compile time only)
; SGPRBlocks: 9
; VGPRBlocks: 3
; NumSGPRsForWavesPerEU: 80
; NumVGPRsForWavesPerEU: 28
; AccumOffset: 28
; Occupancy: 8
; WaveLimiterHint : 0
; COMPUTE_PGM_RSRC2:SCRATCH_EN: 0
; COMPUTE_PGM_RSRC2:USER_SGPR: 2
; COMPUTE_PGM_RSRC2:TRAP_HANDLER: 0
; COMPUTE_PGM_RSRC2:TGID_X_EN: 1
; COMPUTE_PGM_RSRC2:TGID_Y_EN: 0
; COMPUTE_PGM_RSRC2:TGID_Z_EN: 0
; COMPUTE_PGM_RSRC2:TIDIG_COMP_CNT: 0
; COMPUTE_PGM_RSRC3_GFX90A:ACCUM_OFFSET: 6
; COMPUTE_PGM_RSRC3_GFX90A:TG_SPLIT: 0
	.section	.text._ZN9rocsolver6v33100L12sterf_kernelIdEEviPT_lS3_lPiS4_iS2_S2_S2_,"axG",@progbits,_ZN9rocsolver6v33100L12sterf_kernelIdEEviPT_lS3_lPiS4_iS2_S2_S2_,comdat
	.globl	_ZN9rocsolver6v33100L12sterf_kernelIdEEviPT_lS3_lPiS4_iS2_S2_S2_ ; -- Begin function _ZN9rocsolver6v33100L12sterf_kernelIdEEviPT_lS3_lPiS4_iS2_S2_S2_
	.p2align	8
	.type	_ZN9rocsolver6v33100L12sterf_kernelIdEEviPT_lS3_lPiS4_iS2_S2_S2_,@function
_ZN9rocsolver6v33100L12sterf_kernelIdEEviPT_lS3_lPiS4_iS2_S2_S2_: ; @_ZN9rocsolver6v33100L12sterf_kernelIdEEviPT_lS3_lPiS4_iS2_S2_S2_
; %bb.0:
	s_load_dwordx8 s[12:19], s[0:1], 0x8
	s_load_dword s33, s[0:1], 0x0
	s_load_dword s60, s[0:1], 0x38
	s_ashr_i32 s3, s2, 31
	s_waitcnt lgkmcnt(0)
	s_mul_hi_u32 s4, s14, s2
	s_mul_i32 s5, s14, s3
	s_add_i32 s4, s4, s5
	s_mul_i32 s5, s15, s2
	s_add_i32 s5, s4, s5
	s_mul_i32 s4, s14, s2
	s_lshl_b64 s[10:11], s[4:5], 3
	s_add_u32 s58, s12, s10
	s_mul_hi_u32 s4, s18, s2
	s_mul_i32 s5, s18, s3
	s_addc_u32 s59, s13, s11
	s_add_i32 s4, s4, s5
	s_mul_i32 s5, s19, s2
	s_add_i32 s5, s4, s5
	s_mul_i32 s4, s18, s2
	s_lshl_b64 s[4:5], s[4:5], 3
	s_add_u32 s14, s16, s4
	s_addc_u32 s15, s17, s5
	s_min_i32 s6, s33, s60
	s_cmp_lt_i32 s6, 1
	s_cbranch_scc1 .LBB2_148
; %bb.1:
	s_add_i32 s61, s33, -1
	s_add_u32 s62, s16, s4
	s_addc_u32 s63, s17, s5
	s_add_u32 s64, s62, -8
	s_addc_u32 s65, s63, -1
	s_add_u32 s66, s12, s10
	s_load_dwordx4 s[20:23], s[0:1], 0x40
	s_load_dwordx2 s[18:19], s[0:1], 0x50
	s_addc_u32 s67, s13, s11
	s_add_u32 s68, s66, 8
	s_addc_u32 s69, s67, 0
	s_add_u32 s70, s62, 8
	v_mov_b32_e32 v2, 0
	s_mov_b32 s16, 0
	s_mov_b32 s24, 0x667f3bcd
	s_waitcnt lgkmcnt(0)
	v_mul_f64 v[0:1], s[20:21], s[20:21]
	s_addc_u32 s71, s63, 0
	s_mov_b32 s72, 0
	s_brev_b32 s17, 8
	v_mov_b32_e32 v24, 0x260
	s_mov_b32 s25, 0x3ff6a09e
	v_mov_b32_e32 v3, v2
	s_mov_b32 s27, 0
	s_mov_b32 s73, 0
	s_branch .LBB2_3
.LBB2_2:                                ;   in Loop: Header=BB2_3 Depth=1
	s_andn2_b64 vcc, exec, s[8:9]
	s_cbranch_vccz .LBB2_20
.LBB2_3:                                ; =>This Loop Header: Depth=1
                                        ;     Child Loop BB2_7 Depth 2
                                        ;     Child Loop BB2_14 Depth 2
	;; [unrolled: 1-line block ×6, first 2 shown]
                                        ;       Child Loop BB2_56 Depth 3
                                        ;       Child Loop BB2_68 Depth 3
                                        ;     Child Loop BB2_102 Depth 2
                                        ;       Child Loop BB2_104 Depth 3
                                        ;       Child Loop BB2_117 Depth 3
                                        ;     Child Loop BB2_46 Depth 2
                                        ;     Child Loop BB2_50 Depth 2
	s_mov_b32 s26, s27
	s_cmp_lt_i32 s27, 1
	s_cbranch_scc1 .LBB2_5
; %bb.4:                                ;   in Loop: Header=BB2_3 Depth=1
	s_mov_b32 s27, s72
	s_lshl_b64 s[4:5], s[26:27], 3
	s_add_u32 s4, s14, s4
	s_addc_u32 s5, s15, s5
	global_store_dwordx2 v2, v[2:3], s[4:5] offset:-8
.LBB2_5:                                ;   in Loop: Header=BB2_3 Depth=1
	s_ashr_i32 s27, s26, 31
	s_lshl_b64 s[30:31], s[26:27], 3
	s_add_u32 s6, s64, s30
	s_addc_u32 s7, s65, s31
	s_add_u32 s4, s68, s30
	s_addc_u32 s5, s69, s31
	s_mov_b32 s28, s26
	s_mov_b64 s[8:9], -1
	s_cmp_ge_i32 s28, s61
	s_mov_b64 s[34:35], -1
                                        ; implicit-def: $sgpr27
	s_cbranch_scc1 .LBB2_7
.LBB2_6:                                ;   in Loop: Header=BB2_3 Depth=1
	global_load_dwordx4 v[4:7], v2, s[4:5] offset:-8
	global_load_dwordx2 v[8:9], v2, s[6:7] offset:8
	s_add_u32 s6, s6, 8
	s_addc_u32 s7, s7, 0
	s_mov_b64 s[8:9], 0
	s_waitcnt vmcnt(1)
	v_cmp_lt_f64_e64 s[34:35], |v[4:5]|, s[16:17]
	s_and_b64 s[34:35], s[34:35], exec
	v_cmp_lt_f64_e64 s[36:37], |v[6:7]|, s[16:17]
	s_cselect_b32 s29, 0x100, 0
	s_cselect_b32 s38, 0xffffff80, 0
	s_add_i32 s27, s28, 1
	v_ldexp_f64 v[4:5], |v[4:5]|, s29
	s_and_b64 s[34:35], s[36:37], exec
	v_rsq_f64_e32 v[10:11], v[4:5]
	s_cselect_b32 s29, 0x100, 0
	v_ldexp_f64 v[6:7], |v[6:7]|, s29
	v_rsq_f64_e32 v[12:13], v[6:7]
	v_mul_f64 v[14:15], v[4:5], v[10:11]
	v_mul_f64 v[10:11], v[10:11], 0.5
	v_fma_f64 v[16:17], -v[10:11], v[14:15], 0.5
	v_fmac_f64_e32 v[14:15], v[14:15], v[16:17]
	v_fmac_f64_e32 v[10:11], v[10:11], v[16:17]
	v_mul_f64 v[16:17], v[6:7], v[12:13]
	v_mul_f64 v[12:13], v[12:13], 0.5
	v_fma_f64 v[18:19], -v[14:15], v[14:15], v[4:5]
	v_fma_f64 v[20:21], -v[12:13], v[16:17], 0.5
	v_fmac_f64_e32 v[14:15], v[18:19], v[10:11]
	v_fmac_f64_e32 v[16:17], v[16:17], v[20:21]
	;; [unrolled: 1-line block ×3, first 2 shown]
	v_fma_f64 v[18:19], -v[14:15], v[14:15], v[4:5]
	v_fma_f64 v[20:21], -v[16:17], v[16:17], v[6:7]
	v_fmac_f64_e32 v[14:15], v[18:19], v[10:11]
	v_fmac_f64_e32 v[16:17], v[20:21], v[12:13]
	v_ldexp_f64 v[10:11], v[14:15], s38
	v_fma_f64 v[14:15], -v[16:17], v[16:17], v[6:7]
	s_cselect_b32 s34, 0xffffff80, 0
	v_cmp_class_f64_e32 vcc, v[4:5], v24
	v_fmac_f64_e32 v[16:17], v[14:15], v[12:13]
	s_add_u32 s4, s4, 8
	v_cndmask_b32_e32 v5, v11, v5, vcc
	v_cndmask_b32_e32 v4, v10, v4, vcc
	v_ldexp_f64 v[10:11], v[16:17], s34
	v_cmp_class_f64_e32 vcc, v[6:7], v24
	s_addc_u32 s5, s5, 0
	s_nop 0
	v_cndmask_b32_e32 v7, v11, v7, vcc
	v_cndmask_b32_e32 v6, v10, v6, vcc
	v_mul_f64 v[4:5], v[4:5], v[6:7]
	v_mul_f64 v[4:5], s[20:21], v[4:5]
	s_waitcnt vmcnt(0)
	v_cmp_le_f64_e64 s[34:35], |v[8:9]|, v[4:5]
.LBB2_7:                                ;   Parent Loop BB2_3 Depth=1
                                        ; =>  This Inner Loop Header: Depth=2
	s_andn2_b64 vcc, exec, s[34:35]
	s_cbranch_vccz .LBB2_9
; %bb.8:                                ;   in Loop: Header=BB2_7 Depth=2
	s_mov_b32 s28, s27
	s_mov_b64 s[8:9], -1
	s_cmp_ge_i32 s28, s61
	s_mov_b64 s[34:35], -1
                                        ; implicit-def: $sgpr27
	s_cbranch_scc0 .LBB2_6
	s_branch .LBB2_7
.LBB2_9:                                ;   in Loop: Header=BB2_3 Depth=1
	s_andn2_b64 vcc, exec, s[8:9]
	s_mov_b64 s[4:5], -1
	s_cbranch_vccnz .LBB2_16
; %bb.10:                               ;   in Loop: Header=BB2_3 Depth=1
	s_andn2_b64 vcc, exec, s[4:5]
	s_cbranch_vccz .LBB2_17
.LBB2_11:                               ;   in Loop: Header=BB2_3 Depth=1
	s_cmp_lg_u32 s28, s26
	s_mov_b64 s[6:7], -1
	s_cbranch_scc0 .LBB2_18
.LBB2_12:                               ;   in Loop: Header=BB2_3 Depth=1
	s_ashr_i32 s29, s28, 31
	s_lshl_b64 s[4:5], s[28:29], 3
	s_add_u32 s34, s58, s4
	s_addc_u32 s35, s59, s5
	global_load_dwordx2 v[6:7], v2, s[34:35]
	s_cmp_lt_i32 s26, s28
	s_cselect_b64 s[4:5], -1, 0
	s_cmp_ge_i32 s26, s28
	s_waitcnt vmcnt(0)
	v_and_b32_e32 v5, 0x7fffffff, v7
	v_mov_b32_e32 v4, v6
	s_cbranch_scc1 .LBB2_15
; %bb.13:                               ;   in Loop: Header=BB2_3 Depth=1
	s_add_u32 s8, s66, s30
	s_addc_u32 s9, s67, s31
	s_add_u32 s36, s62, s30
	s_addc_u32 s37, s63, s31
	s_mov_b32 s29, s26
.LBB2_14:                               ;   Parent Loop BB2_3 Depth=1
                                        ; =>  This Inner Loop Header: Depth=2
	global_load_dwordx2 v[8:9], v2, s[36:37]
	global_load_dwordx2 v[10:11], v2, s[8:9]
	s_add_i32 s29, s29, 1
	s_add_u32 s8, s8, 8
	s_addc_u32 s9, s9, 0
	s_add_u32 s36, s36, 8
	v_max_f64 v[4:5], v[4:5], v[4:5]
	s_addc_u32 s37, s37, 0
	s_cmp_lt_i32 s29, s28
	s_waitcnt vmcnt(1)
	v_max_f64 v[8:9], |v[8:9]|, |v[8:9]|
	s_waitcnt vmcnt(0)
	v_max_f64 v[10:11], |v[10:11]|, |v[10:11]|
	v_max_f64 v[8:9], v[10:11], v[8:9]
	v_max_f64 v[4:5], v[4:5], v[8:9]
	s_cbranch_scc1 .LBB2_14
.LBB2_15:                               ;   in Loop: Header=BB2_3 Depth=1
	v_cmp_eq_f64_e64 s[8:9], 0, v[4:5]
	s_and_b64 vcc, exec, s[8:9]
	s_mov_b64 s[8:9], -1
	s_cbranch_vccz .LBB2_2
	s_branch .LBB2_19
.LBB2_16:                               ;   in Loop: Header=BB2_3 Depth=1
	global_store_dwordx2 v2, v[2:3], s[6:7]
	s_cbranch_execnz .LBB2_11
.LBB2_17:                               ;   in Loop: Header=BB2_3 Depth=1
	s_max_i32 s28, s26, s61
	s_add_i32 s27, s28, 1
	s_cmp_lg_u32 s28, s26
	s_mov_b64 s[6:7], -1
	s_cbranch_scc1 .LBB2_12
.LBB2_18:                               ;   in Loop: Header=BB2_3 Depth=1
                                        ; implicit-def: $sgpr34_sgpr35
                                        ; implicit-def: $vgpr6_vgpr7
                                        ; implicit-def: $sgpr4_sgpr5
                                        ; implicit-def: $vgpr4_vgpr5
	s_mov_b64 s[8:9], -1
	s_cbranch_execz .LBB2_2
.LBB2_19:                               ;   in Loop: Header=BB2_3 Depth=1
	s_cmp_ge_i32 s27, s33
	s_mov_b64 s[6:7], 0
	s_cselect_b64 s[8:9], -1, 0
	s_branch .LBB2_2
.LBB2_20:                               ;   in Loop: Header=BB2_3 Depth=1
	s_mov_b64 s[8:9], -1
	s_and_b64 vcc, exec, s[6:7]
                                        ; implicit-def: $sgpr37
	s_cbranch_vccz .LBB2_52
; %bb.21:                               ;   in Loop: Header=BB2_3 Depth=1
	v_cmp_nlt_f64_e32 vcc, s[18:19], v[4:5]
	s_cbranch_vccz .LBB2_27
; %bb.22:                               ;   in Loop: Header=BB2_3 Depth=1
	v_cmp_gt_f64_e32 vcc, s[22:23], v[4:5]
	s_mov_b64 s[6:7], -1
	s_cbranch_vccz .LBB2_28
; %bb.23:                               ;   in Loop: Header=BB2_3 Depth=1
	v_div_scale_f64 v[8:9], s[6:7], s[22:23], s[22:23], v[4:5]
	v_rcp_f64_e32 v[10:11], v[8:9]
	v_div_scale_f64 v[12:13], vcc, v[4:5], s[22:23], v[4:5]
	s_mov_b64 s[6:7], 0
	v_fma_f64 v[14:15], -v[8:9], v[10:11], 1.0
	v_fmac_f64_e32 v[10:11], v[10:11], v[14:15]
	v_fma_f64 v[14:15], -v[8:9], v[10:11], 1.0
	v_fmac_f64_e32 v[10:11], v[10:11], v[14:15]
	v_mul_f64 v[14:15], v[12:13], v[10:11]
	v_fma_f64 v[8:9], -v[8:9], v[14:15], v[12:13]
	v_div_fmas_f64 v[8:9], v[8:9], v[10:11], v[14:15]
	v_div_fixup_f64 v[8:9], v[8:9], s[22:23], v[4:5]
	s_waitcnt vmcnt(0)
	v_mul_f64 v[10:11], v[6:7], v[8:9]
	s_and_b64 vcc, exec, s[4:5]
	global_store_dwordx2 v2, v[10:11], s[34:35]
	s_cbranch_vccz .LBB2_28
; %bb.24:                               ;   in Loop: Header=BB2_3 Depth=1
	s_add_u32 s6, s66, s30
	s_addc_u32 s7, s67, s31
	s_add_u32 s8, s62, s30
	s_addc_u32 s9, s63, s31
	s_mov_b32 s29, s26
.LBB2_25:                               ;   Parent Loop BB2_3 Depth=1
                                        ; =>  This Inner Loop Header: Depth=2
	global_load_dwordx2 v[10:11], v2, s[6:7]
	s_add_i32 s29, s29, 1
	s_waitcnt vmcnt(0)
	v_mul_f64 v[10:11], v[8:9], v[10:11]
	global_store_dwordx2 v2, v[10:11], s[6:7]
	global_load_dwordx2 v[10:11], v2, s[8:9]
	s_add_u32 s6, s6, 8
	s_addc_u32 s7, s7, 0
	s_waitcnt vmcnt(0)
	v_mul_f64 v[10:11], v[8:9], v[10:11]
	global_store_dwordx2 v2, v[10:11], s[8:9]
	s_add_u32 s8, s8, 8
	s_addc_u32 s9, s9, 0
	s_cmp_lt_i32 s29, s28
	s_cbranch_scc1 .LBB2_25
; %bb.26:                               ;   in Loop: Header=BB2_3 Depth=1
	s_mov_b64 s[6:7], -1
	s_branch .LBB2_33
.LBB2_27:                               ;   in Loop: Header=BB2_3 Depth=1
	s_mov_b64 s[6:7], 0
	s_and_b64 vcc, exec, s[8:9]
	s_cbranch_vccnz .LBB2_29
	s_branch .LBB2_33
.LBB2_28:                               ;   in Loop: Header=BB2_3 Depth=1
	s_branch .LBB2_33
.LBB2_29:                               ;   in Loop: Header=BB2_3 Depth=1
	v_div_scale_f64 v[8:9], s[8:9], s[18:19], s[18:19], v[4:5]
	v_rcp_f64_e32 v[10:11], v[8:9]
	v_div_scale_f64 v[12:13], vcc, v[4:5], s[18:19], v[4:5]
	v_fma_f64 v[14:15], -v[8:9], v[10:11], 1.0
	v_fmac_f64_e32 v[10:11], v[10:11], v[14:15]
	v_fma_f64 v[14:15], -v[8:9], v[10:11], 1.0
	v_fmac_f64_e32 v[10:11], v[10:11], v[14:15]
	v_mul_f64 v[14:15], v[12:13], v[10:11]
	v_fma_f64 v[8:9], -v[8:9], v[14:15], v[12:13]
	v_div_fmas_f64 v[8:9], v[8:9], v[10:11], v[14:15]
	v_div_fixup_f64 v[8:9], v[8:9], s[18:19], v[4:5]
	s_waitcnt vmcnt(0)
	v_mul_f64 v[6:7], v[6:7], v[8:9]
	s_and_b64 vcc, exec, s[4:5]
	global_store_dwordx2 v2, v[6:7], s[34:35]
	s_cbranch_vccz .LBB2_33
; %bb.30:                               ;   in Loop: Header=BB2_3 Depth=1
	s_add_u32 s6, s66, s30
	s_addc_u32 s7, s67, s31
	s_add_u32 s8, s62, s30
	s_addc_u32 s9, s63, s31
	s_mov_b32 s29, s26
.LBB2_31:                               ;   Parent Loop BB2_3 Depth=1
                                        ; =>  This Inner Loop Header: Depth=2
	global_load_dwordx2 v[6:7], v2, s[6:7]
	s_add_i32 s29, s29, 1
	s_waitcnt vmcnt(0)
	v_mul_f64 v[6:7], v[8:9], v[6:7]
	global_store_dwordx2 v2, v[6:7], s[6:7]
	global_load_dwordx2 v[6:7], v2, s[8:9]
	s_add_u32 s6, s6, 8
	s_addc_u32 s7, s7, 0
	s_waitcnt vmcnt(0)
	v_mul_f64 v[6:7], v[8:9], v[6:7]
	global_store_dwordx2 v2, v[6:7], s[8:9]
	s_add_u32 s8, s8, 8
	s_addc_u32 s9, s9, 0
	s_cmp_ge_i32 s29, s28
	s_cbranch_scc0 .LBB2_31
; %bb.32:                               ;   in Loop: Header=BB2_3 Depth=1
	s_mov_b64 s[6:7], -1
.LBB2_33:                               ;   in Loop: Header=BB2_3 Depth=1
	s_waitcnt vmcnt(0)
	v_cndmask_b32_e64 v6, 0, 1, s[4:5]
	s_and_b64 vcc, exec, s[6:7]
	v_cmp_ne_u32_e64 s[4:5], 1, v6
	s_cbranch_vccz .LBB2_37
; %bb.34:                               ;   in Loop: Header=BB2_3 Depth=1
	s_and_b64 vcc, exec, s[4:5]
	s_cbranch_vccnz .LBB2_37
; %bb.35:                               ;   in Loop: Header=BB2_3 Depth=1
	s_add_u32 s6, s62, s30
	s_addc_u32 s7, s63, s31
	s_mov_b32 s8, s26
.LBB2_36:                               ;   Parent Loop BB2_3 Depth=1
                                        ; =>  This Inner Loop Header: Depth=2
	global_load_dwordx2 v[6:7], v2, s[6:7]
	s_add_i32 s8, s8, 1
	s_waitcnt vmcnt(0)
	v_mul_f64 v[6:7], v[6:7], v[6:7]
	global_store_dwordx2 v2, v[6:7], s[6:7]
	s_add_u32 s6, s6, 8
	s_addc_u32 s7, s7, 0
	s_cmp_lt_i32 s8, s28
	s_cbranch_scc1 .LBB2_36
.LBB2_37:                               ;   in Loop: Header=BB2_3 Depth=1
	s_add_u32 s6, s58, s30
	s_addc_u32 s7, s59, s31
	global_load_dwordx2 v[6:7], v2, s[34:35]
	global_load_dwordx2 v[8:9], v2, s[6:7]
	s_mov_b64 s[8:9], -1
                                        ; implicit-def: $sgpr37
	s_waitcnt vmcnt(0)
	v_cmp_lt_f64_e64 s[6:7], |v[6:7]|, |v[8:9]|
	s_and_b64 s[6:7], s[6:7], exec
	s_cselect_b32 s29, s26, s28
	s_cselect_b32 s36, s28, s26
	s_cmp_lt_i32 s73, s60
	s_cselect_b64 s[6:7], -1, 0
	v_cndmask_b32_e64 v6, 0, 1, s[6:7]
	s_cmp_lt_i32 s29, s36
	v_cmp_ne_u32_e64 s[6:7], 1, v6
	s_cbranch_scc0 .LBB2_40
; %bb.38:                               ;   in Loop: Header=BB2_3 Depth=1
	s_andn2_b64 vcc, exec, s[8:9]
	s_cbranch_vccz .LBB2_42
.LBB2_39:                               ;   in Loop: Header=BB2_3 Depth=1
	v_cmp_lt_f64_e32 vcc, s[18:19], v[4:5]
	s_andn2_b64 vcc, exec, vcc
	s_cbranch_vccz .LBB2_44
	s_branch .LBB2_47
.LBB2_40:                               ;   in Loop: Header=BB2_3 Depth=1
	s_and_b64 vcc, exec, s[6:7]
	s_mov_b32 s37, s73
	s_mov_b32 s38, s36
	s_cbranch_vccz .LBB2_54
.LBB2_41:                               ;   in Loop: Header=BB2_3 Depth=1
	s_cbranch_execnz .LBB2_39
.LBB2_42:                               ;   in Loop: Header=BB2_3 Depth=1
	s_and_b64 vcc, exec, s[6:7]
	s_cbranch_vccz .LBB2_102
.LBB2_43:                               ;   in Loop: Header=BB2_3 Depth=1
	s_mov_b32 s37, s73
	v_cmp_lt_f64_e32 vcc, s[18:19], v[4:5]
	s_andn2_b64 vcc, exec, vcc
	s_cbranch_vccnz .LBB2_47
.LBB2_44:                               ;   in Loop: Header=BB2_3 Depth=1
	global_load_dwordx2 v[8:9], v2, s[34:35]
	s_waitcnt vmcnt(1)
	v_div_scale_f64 v[6:7], s[6:7], v[4:5], v[4:5], s[18:19]
	v_rcp_f64_e32 v[10:11], v[6:7]
	v_div_scale_f64 v[12:13], vcc, s[18:19], v[4:5], s[18:19]
	v_fma_f64 v[14:15], -v[6:7], v[10:11], 1.0
	v_fmac_f64_e32 v[10:11], v[10:11], v[14:15]
	v_fma_f64 v[14:15], -v[6:7], v[10:11], 1.0
	v_fmac_f64_e32 v[10:11], v[10:11], v[14:15]
	v_mul_f64 v[14:15], v[12:13], v[10:11]
	v_fma_f64 v[6:7], -v[6:7], v[14:15], v[12:13]
	v_div_fmas_f64 v[6:7], v[6:7], v[10:11], v[14:15]
	v_div_fixup_f64 v[6:7], v[6:7], v[4:5], s[18:19]
	s_and_b64 vcc, exec, s[4:5]
	s_waitcnt vmcnt(0)
	v_mul_f64 v[8:9], v[6:7], v[8:9]
	global_store_dwordx2 v2, v[8:9], s[34:35]
	s_cbranch_vccnz .LBB2_47
; %bb.45:                               ;   in Loop: Header=BB2_3 Depth=1
	s_add_u32 s6, s66, s30
	s_addc_u32 s7, s67, s31
	s_add_u32 s8, s62, s30
	s_addc_u32 s9, s63, s31
	s_mov_b32 s29, s26
.LBB2_46:                               ;   Parent Loop BB2_3 Depth=1
                                        ; =>  This Inner Loop Header: Depth=2
	global_load_dwordx2 v[8:9], v2, s[6:7]
	s_add_i32 s29, s29, 1
	s_waitcnt vmcnt(0)
	v_mul_f64 v[8:9], v[6:7], v[8:9]
	global_store_dwordx2 v2, v[8:9], s[6:7]
	global_load_dwordx2 v[8:9], v2, s[8:9]
	s_add_u32 s6, s6, 8
	s_addc_u32 s7, s7, 0
	s_waitcnt vmcnt(0)
	v_mul_f64 v[8:9], v[6:7], v[8:9]
	global_store_dwordx2 v2, v[8:9], s[8:9]
	s_add_u32 s8, s8, 8
	s_addc_u32 s9, s9, 0
	s_cmp_lt_i32 s29, s28
	s_cbranch_scc1 .LBB2_46
.LBB2_47:                               ;   in Loop: Header=BB2_3 Depth=1
	v_cmp_ngt_f64_e32 vcc, s[22:23], v[4:5]
	s_cbranch_vccnz .LBB2_51
; %bb.48:                               ;   in Loop: Header=BB2_3 Depth=1
	global_load_dwordx2 v[6:7], v2, s[34:35]
	v_div_scale_f64 v[8:9], s[6:7], v[4:5], v[4:5], s[22:23]
	v_rcp_f64_e32 v[10:11], v[8:9]
	v_div_scale_f64 v[12:13], vcc, s[22:23], v[4:5], s[22:23]
	v_fma_f64 v[14:15], -v[8:9], v[10:11], 1.0
	v_fmac_f64_e32 v[10:11], v[10:11], v[14:15]
	v_fma_f64 v[14:15], -v[8:9], v[10:11], 1.0
	v_fmac_f64_e32 v[10:11], v[10:11], v[14:15]
	v_mul_f64 v[14:15], v[12:13], v[10:11]
	v_fma_f64 v[8:9], -v[8:9], v[14:15], v[12:13]
	v_div_fmas_f64 v[8:9], v[8:9], v[10:11], v[14:15]
	v_div_fixup_f64 v[4:5], v[8:9], v[4:5], s[22:23]
	s_and_b64 vcc, exec, s[4:5]
	s_waitcnt vmcnt(0)
	v_mul_f64 v[6:7], v[4:5], v[6:7]
	global_store_dwordx2 v2, v[6:7], s[34:35]
	s_cbranch_vccnz .LBB2_51
; %bb.49:                               ;   in Loop: Header=BB2_3 Depth=1
	s_add_u32 s4, s66, s30
	s_addc_u32 s5, s67, s31
	s_add_u32 s6, s62, s30
	s_addc_u32 s7, s63, s31
.LBB2_50:                               ;   Parent Loop BB2_3 Depth=1
                                        ; =>  This Inner Loop Header: Depth=2
	global_load_dwordx2 v[6:7], v2, s[4:5]
	s_add_i32 s26, s26, 1
	s_waitcnt vmcnt(0)
	v_mul_f64 v[6:7], v[4:5], v[6:7]
	global_store_dwordx2 v2, v[6:7], s[4:5]
	global_load_dwordx2 v[6:7], v2, s[6:7]
	s_add_u32 s4, s4, 8
	s_addc_u32 s5, s5, 0
	s_waitcnt vmcnt(0)
	v_mul_f64 v[6:7], v[4:5], v[6:7]
	global_store_dwordx2 v2, v[6:7], s[6:7]
	s_add_u32 s6, s6, 8
	s_addc_u32 s7, s7, 0
	s_cmp_lt_i32 s26, s28
	s_cbranch_scc1 .LBB2_50
.LBB2_51:                               ;   in Loop: Header=BB2_3 Depth=1
	s_cmp_ge_i32 s37, s60
	s_cselect_b64 s[4:5], -1, 0
	s_cmp_ge_i32 s27, s33
	s_cselect_b64 s[6:7], -1, 0
	s_or_b64 s[8:9], s[6:7], s[4:5]
.LBB2_52:                               ;   in Loop: Header=BB2_3 Depth=1
	s_and_b64 vcc, exec, s[8:9]
	s_mov_b32 s73, s37
	s_cbranch_vccz .LBB2_3
	s_branch .LBB2_148
.LBB2_53:                               ;   in Loop: Header=BB2_54 Depth=2
	s_andn2_b64 vcc, exec, s[40:41]
	s_cbranch_vccz .LBB2_41
.LBB2_54:                               ;   Parent Loop BB2_3 Depth=1
                                        ; =>  This Loop Header: Depth=2
                                        ;       Child Loop BB2_56 Depth 3
                                        ;       Child Loop BB2_68 Depth 3
	s_ashr_i32 s39, s38, 31
	s_max_i32 s44, s29, s38
	s_lshl_b64 s[46:47], s[38:39], 3
	s_add_u32 s8, s64, s46
	s_addc_u32 s9, s65, s47
	s_add_u32 s40, s68, s46
	s_addc_u32 s41, s69, s47
	s_mov_b32 s39, s38
	s_mov_b64 s[42:43], -1
	s_cmp_ge_i32 s39, s29
	s_mov_b64 s[48:49], -1
                                        ; implicit-def: $sgpr45
	s_cbranch_scc1 .LBB2_56
.LBB2_55:                               ;   in Loop: Header=BB2_54 Depth=2
	global_load_dwordx4 v[6:9], v2, s[40:41] offset:-8
	global_load_dwordx2 v[10:11], v2, s[8:9] offset:8
	s_add_u32 s8, s8, 8
	s_addc_u32 s9, s9, 0
	s_add_i32 s45, s39, 1
	s_add_u32 s40, s40, 8
	s_mov_b64 s[42:43], 0
	s_addc_u32 s41, s41, 0
	s_waitcnt vmcnt(1)
	v_mul_f64 v[6:7], v[6:7], v[8:9]
	v_mul_f64 v[6:7], v[0:1], |v[6:7]|
	s_waitcnt vmcnt(0)
	v_cmp_le_f64_e64 s[48:49], |v[10:11]|, v[6:7]
.LBB2_56:                               ;   Parent Loop BB2_3 Depth=1
                                        ;     Parent Loop BB2_54 Depth=2
                                        ; =>    This Inner Loop Header: Depth=3
	s_andn2_b64 vcc, exec, s[48:49]
	s_cbranch_vccz .LBB2_58
; %bb.57:                               ;   in Loop: Header=BB2_56 Depth=3
	s_mov_b32 s39, s45
	s_mov_b64 s[42:43], -1
	s_cmp_ge_i32 s39, s29
	s_mov_b64 s[48:49], -1
                                        ; implicit-def: $sgpr45
	s_cbranch_scc0 .LBB2_55
	s_branch .LBB2_56
.LBB2_58:                               ;   in Loop: Header=BB2_54 Depth=2
	s_andn2_b64 vcc, exec, s[42:43]
	s_cbranch_vccz .LBB2_60
; %bb.59:                               ;   in Loop: Header=BB2_54 Depth=2
	s_mov_b32 s44, s39
	global_store_dwordx2 v2, v[2:3], s[8:9]
.LBB2_60:                               ;   in Loop: Header=BB2_54 Depth=2
	s_add_i32 s8, s38, 1
	s_cmp_eq_u32 s44, s38
	s_mov_b64 s[40:41], -1
	s_cbranch_scc1 .LBB2_76
; %bb.61:                               ;   in Loop: Header=BB2_54 Depth=2
	s_add_u32 s42, s58, s46
	s_addc_u32 s43, s59, s47
	global_load_dwordx2 v[6:7], v2, s[42:43]
	s_cmp_lg_u32 s44, s8
	s_cbranch_scc0 .LBB2_77
; %bb.62:                               ;   in Loop: Header=BB2_54 Depth=2
	s_mov_b64 s[48:49], 0
	s_cmp_lg_u32 s37, s60
	s_mov_b32 s39, s60
	s_mov_b64 s[8:9], 0
	s_cbranch_scc0 .LBB2_78
; %bb.63:                               ;   in Loop: Header=BB2_54 Depth=2
	s_add_u32 s50, s14, s46
	s_addc_u32 s51, s15, s47
	global_load_dwordx2 v[8:9], v2, s[50:51]
	global_load_dwordx2 v[10:11], v2, s[42:43] offset:8
	s_waitcnt vmcnt(1)
	v_cmp_gt_f64_e32 vcc, s[16:17], v[8:9]
	s_and_b64 s[8:9], vcc, exec
	s_cselect_b32 s8, 0x100, 0
	v_ldexp_f64 v[8:9], v[8:9], s8
	v_rsq_f64_e32 v[12:13], v[8:9]
	s_cselect_b32 s8, 0xffffff80, 0
	v_cmp_class_f64_e32 vcc, v[8:9], v24
	s_waitcnt vmcnt(0)
	v_add_f64 v[10:11], v[10:11], -v[6:7]
	v_mul_f64 v[14:15], v[8:9], v[12:13]
	v_mul_f64 v[12:13], v[12:13], 0.5
	v_fma_f64 v[16:17], -v[12:13], v[14:15], 0.5
	v_fmac_f64_e32 v[14:15], v[14:15], v[16:17]
	v_fmac_f64_e32 v[12:13], v[12:13], v[16:17]
	v_fma_f64 v[16:17], -v[14:15], v[14:15], v[8:9]
	v_fmac_f64_e32 v[14:15], v[16:17], v[12:13]
	v_fma_f64 v[16:17], -v[14:15], v[14:15], v[8:9]
	v_fmac_f64_e32 v[14:15], v[16:17], v[12:13]
	v_ldexp_f64 v[12:13], v[14:15], s8
	v_cndmask_b32_e32 v9, v13, v9, vcc
	v_cndmask_b32_e32 v8, v12, v8, vcc
	v_add_f64 v[12:13], v[8:9], v[8:9]
	v_div_scale_f64 v[14:15], s[8:9], v[12:13], v[12:13], v[10:11]
	v_rcp_f64_e32 v[16:17], v[14:15]
	v_div_scale_f64 v[18:19], vcc, v[10:11], v[12:13], v[10:11]
	v_fma_f64 v[20:21], -v[14:15], v[16:17], 1.0
	v_fmac_f64_e32 v[16:17], v[16:17], v[20:21]
	v_fma_f64 v[20:21], -v[14:15], v[16:17], 1.0
	v_fmac_f64_e32 v[16:17], v[16:17], v[20:21]
	v_mul_f64 v[20:21], v[18:19], v[16:17]
	v_fma_f64 v[14:15], -v[14:15], v[20:21], v[18:19]
	v_div_fmas_f64 v[14:15], v[14:15], v[16:17], v[20:21]
	v_div_fixup_f64 v[10:11], v[14:15], v[12:13], v[10:11]
	v_fma_f64 v[12:13], v[10:11], v[10:11], 1.0
	v_cmp_gt_f64_e32 vcc, s[16:17], v[12:13]
	s_and_b64 s[8:9], vcc, exec
	s_cselect_b32 s39, 0x100, 0
	s_cselect_b32 s54, 0xffffff80, 0
	s_ashr_i32 s45, s44, 31
	s_lshl_b64 s[8:9], s[44:45], 3
	s_add_u32 s52, s58, s8
	s_addc_u32 s53, s59, s9
	global_load_dwordx2 v[14:15], v2, s[52:53]
	v_ldexp_f64 v[12:13], v[12:13], s39
	v_rsq_f64_e32 v[16:17], v[12:13]
	v_cmp_class_f64_e32 vcc, v[12:13], v24
	s_cmp_le_i32 s44, s38
	v_mul_f64 v[18:19], v[12:13], v[16:17]
	v_mul_f64 v[16:17], v[16:17], 0.5
	v_fma_f64 v[20:21], -v[16:17], v[18:19], 0.5
	v_fmac_f64_e32 v[18:19], v[18:19], v[20:21]
	v_fmac_f64_e32 v[16:17], v[16:17], v[20:21]
	v_fma_f64 v[20:21], -v[18:19], v[18:19], v[12:13]
	v_fmac_f64_e32 v[18:19], v[20:21], v[16:17]
	v_fma_f64 v[20:21], -v[18:19], v[18:19], v[12:13]
	v_fmac_f64_e32 v[18:19], v[20:21], v[16:17]
	v_ldexp_f64 v[16:17], v[18:19], s54
	v_cndmask_b32_e32 v13, v17, v13, vcc
	v_cndmask_b32_e32 v12, v16, v12, vcc
	v_and_b32_e32 v16, 0x7fffffff, v13
	v_or_b32_e32 v13, 0x80000000, v13
	v_cmp_nle_f64_e32 vcc, 0, v[10:11]
	s_nop 1
	v_cndmask_b32_e32 v13, v16, v13, vcc
	v_add_f64 v[10:11], v[10:11], v[12:13]
	v_div_scale_f64 v[12:13], s[54:55], v[10:11], v[10:11], v[8:9]
	v_rcp_f64_e32 v[16:17], v[12:13]
	v_div_scale_f64 v[18:19], vcc, v[8:9], v[10:11], v[8:9]
	v_fma_f64 v[20:21], -v[12:13], v[16:17], 1.0
	v_fmac_f64_e32 v[16:17], v[16:17], v[20:21]
	v_fma_f64 v[20:21], -v[12:13], v[16:17], 1.0
	v_fmac_f64_e32 v[16:17], v[16:17], v[20:21]
	v_mul_f64 v[20:21], v[18:19], v[16:17]
	v_fma_f64 v[12:13], -v[12:13], v[20:21], v[18:19]
	v_div_fmas_f64 v[12:13], v[12:13], v[16:17], v[20:21]
	v_div_fixup_f64 v[8:9], v[12:13], v[10:11], v[8:9]
	v_add_f64 v[8:9], v[6:7], -v[8:9]
	v_mov_b64_e32 v[12:13], 0
	s_waitcnt vmcnt(0)
	v_add_f64 v[14:15], v[14:15], -v[8:9]
	v_mul_f64 v[16:17], v[14:15], v[14:15]
	s_cbranch_scc1 .LBB2_98
; %bb.64:                               ;   in Loop: Header=BB2_54 Depth=2
	s_add_u32 s8, s14, s8
	s_addc_u32 s9, s15, s9
	global_load_dwordx2 v[10:11], v2, s[8:9] offset:-8
	global_load_dwordx2 v[20:21], v2, s[52:53] offset:-8
	s_waitcnt vmcnt(1)
	v_add_f64 v[12:13], v[16:17], v[10:11]
	v_div_scale_f64 v[22:23], s[8:9], v[12:13], v[12:13], v[16:17]
	v_div_scale_f64 v[28:29], s[8:9], v[12:13], v[12:13], v[10:11]
	v_rcp_f64_e32 v[30:31], v[22:23]
	v_rcp_f64_e32 v[32:33], v[28:29]
	v_div_scale_f64 v[26:27], vcc, v[16:17], v[12:13], v[16:17]
	v_fma_f64 v[36:37], -v[22:23], v[30:31], 1.0
	v_fma_f64 v[38:39], -v[28:29], v[32:33], 1.0
	v_fmac_f64_e32 v[30:31], v[30:31], v[36:37]
	v_fmac_f64_e32 v[32:33], v[32:33], v[38:39]
	v_fma_f64 v[36:37], -v[22:23], v[30:31], 1.0
	v_fma_f64 v[38:39], -v[28:29], v[32:33], 1.0
	v_fmac_f64_e32 v[30:31], v[30:31], v[36:37]
	v_div_scale_f64 v[34:35], s[8:9], v[10:11], v[12:13], v[10:11]
	v_fmac_f64_e32 v[32:33], v[32:33], v[38:39]
	v_mul_f64 v[36:37], v[26:27], v[30:31]
	v_mul_f64 v[38:39], v[34:35], v[32:33]
	v_fma_f64 v[22:23], -v[22:23], v[36:37], v[26:27]
	v_fma_f64 v[26:27], -v[28:29], v[38:39], v[34:35]
	v_div_fmas_f64 v[22:23], v[22:23], v[30:31], v[36:37]
	s_mov_b64 vcc, s[8:9]
	v_div_fixup_f64 v[16:17], v[22:23], v[12:13], v[16:17]
	v_div_fmas_f64 v[22:23], v[26:27], v[32:33], v[38:39]
	v_div_fixup_f64 v[12:13], v[22:23], v[12:13], v[10:11]
	s_waitcnt vmcnt(0)
	v_add_f64 v[18:19], v[20:21], -v[8:9]
	v_mul_f64 v[22:23], v[14:15], v[12:13]
	v_fma_f64 v[18:19], v[16:17], v[18:19], -v[22:23]
	v_cmp_eq_f64_e32 vcc, 0, v[16:17]
	v_add_f64 v[20:21], v[20:21], -v[18:19]
	v_add_f64 v[14:15], v[14:15], v[20:21]
	global_store_dwordx2 v2, v[14:15], s[52:53]
	s_cbranch_vccnz .LBB2_66
; %bb.65:                               ;   in Loop: Header=BB2_54 Depth=2
	v_mul_f64 v[10:11], v[18:19], v[18:19]
	v_div_scale_f64 v[14:15], s[8:9], v[16:17], v[16:17], v[10:11]
	v_rcp_f64_e32 v[20:21], v[14:15]
	v_div_scale_f64 v[22:23], vcc, v[10:11], v[16:17], v[10:11]
	v_fma_f64 v[26:27], -v[14:15], v[20:21], 1.0
	v_fmac_f64_e32 v[20:21], v[20:21], v[26:27]
	v_fma_f64 v[26:27], -v[14:15], v[20:21], 1.0
	v_fmac_f64_e32 v[20:21], v[20:21], v[26:27]
	v_mul_f64 v[26:27], v[22:23], v[20:21]
	v_fma_f64 v[14:15], -v[14:15], v[26:27], v[22:23]
	v_div_fmas_f64 v[14:15], v[14:15], v[20:21], v[26:27]
	v_div_fixup_f64 v[10:11], v[14:15], v[16:17], v[10:11]
.LBB2_66:                               ;   in Loop: Header=BB2_54 Depth=2
	s_add_i32 s8, s44, -1
	s_cmp_le_i32 s8, s38
	s_cbranch_scc1 .LBB2_96
; %bb.67:                               ;   in Loop: Header=BB2_54 Depth=2
	s_add_i32 s8, s44, -2
	s_ashr_i32 s9, s8, 31
	s_lshl_b64 s[8:9], s[8:9], 3
	s_add_u32 s54, s68, s8
	s_addc_u32 s55, s69, s9
	s_add_u32 s8, s70, s8
	s_addc_u32 s9, s71, s9
	s_mov_b32 s39, -1
.LBB2_68:                               ;   Parent Loop BB2_3 Depth=1
                                        ;     Parent Loop BB2_54 Depth=2
                                        ; =>    This Inner Loop Header: Depth=3
	global_load_dwordx2 v[20:21], v2, s[8:9] offset:-8
	s_add_u32 s52, s8, -8
	s_addc_u32 s53, s9, -1
	s_cmp_eq_u32 s39, 0
	s_waitcnt vmcnt(0)
	v_add_f64 v[14:15], v[10:11], v[20:21]
	s_cbranch_scc1 .LBB2_70
; %bb.69:                               ;   in Loop: Header=BB2_68 Depth=3
	v_mul_f64 v[12:13], v[12:13], v[14:15]
	global_store_dwordx2 v2, v[12:13], s[8:9]
.LBB2_70:                               ;   in Loop: Header=BB2_68 Depth=3
	global_load_dwordx2 v[26:27], v2, s[54:55] offset:-8
	v_div_scale_f64 v[12:13], s[8:9], v[14:15], v[14:15], v[10:11]
	v_div_scale_f64 v[28:29], s[8:9], v[14:15], v[14:15], v[20:21]
	v_rcp_f64_e32 v[32:33], v[12:13]
	v_rcp_f64_e32 v[34:35], v[28:29]
	v_div_scale_f64 v[22:23], vcc, v[10:11], v[14:15], v[10:11]
	v_fma_f64 v[36:37], -v[12:13], v[32:33], 1.0
	v_fma_f64 v[38:39], -v[28:29], v[34:35], 1.0
	v_fmac_f64_e32 v[32:33], v[32:33], v[36:37]
	v_fmac_f64_e32 v[34:35], v[34:35], v[38:39]
	v_fma_f64 v[36:37], -v[12:13], v[32:33], 1.0
	v_fma_f64 v[38:39], -v[28:29], v[34:35], 1.0
	v_fmac_f64_e32 v[32:33], v[32:33], v[36:37]
	v_div_scale_f64 v[30:31], s[8:9], v[20:21], v[14:15], v[20:21]
	v_fmac_f64_e32 v[34:35], v[34:35], v[38:39]
	v_mul_f64 v[36:37], v[22:23], v[32:33]
	v_mul_f64 v[38:39], v[30:31], v[34:35]
	v_fma_f64 v[12:13], -v[12:13], v[36:37], v[22:23]
	v_fma_f64 v[28:29], -v[28:29], v[38:39], v[30:31]
	v_div_fmas_f64 v[12:13], v[12:13], v[32:33], v[36:37]
	s_mov_b64 vcc, s[8:9]
	v_div_fixup_f64 v[22:23], v[12:13], v[14:15], v[10:11]
	v_div_fmas_f64 v[10:11], v[28:29], v[34:35], v[38:39]
	v_div_fixup_f64 v[12:13], v[10:11], v[14:15], v[20:21]
	v_mul_f64 v[10:11], v[18:19], v[12:13]
	s_add_u32 s56, s54, -8
	v_cmp_eq_f64_e32 vcc, 0, v[22:23]
	s_addc_u32 s57, s55, -1
	s_and_b64 vcc, exec, vcc
	s_waitcnt vmcnt(0)
	v_add_f64 v[14:15], v[26:27], -v[8:9]
	v_fma_f64 v[14:15], v[22:23], v[14:15], -v[10:11]
	v_add_f64 v[10:11], v[26:27], -v[14:15]
	v_add_f64 v[10:11], v[18:19], v[10:11]
	global_store_dwordx2 v2, v[10:11], s[54:55]
	s_cbranch_vccz .LBB2_75
; %bb.71:                               ;   in Loop: Header=BB2_68 Depth=3
	v_mul_f64 v[10:11], v[16:17], v[20:21]
	s_cbranch_execnz .LBB2_73
.LBB2_72:                               ;   in Loop: Header=BB2_68 Depth=3
	v_mul_f64 v[10:11], v[14:15], v[14:15]
	v_div_scale_f64 v[16:17], s[8:9], v[22:23], v[22:23], v[10:11]
	v_rcp_f64_e32 v[18:19], v[16:17]
	v_div_scale_f64 v[20:21], vcc, v[10:11], v[22:23], v[10:11]
	v_fma_f64 v[26:27], -v[16:17], v[18:19], 1.0
	v_fmac_f64_e32 v[18:19], v[18:19], v[26:27]
	v_fma_f64 v[26:27], -v[16:17], v[18:19], 1.0
	v_fmac_f64_e32 v[18:19], v[18:19], v[26:27]
	v_mul_f64 v[26:27], v[20:21], v[18:19]
	v_fma_f64 v[16:17], -v[16:17], v[26:27], v[20:21]
	v_div_fmas_f64 v[16:17], v[16:17], v[18:19], v[26:27]
	v_div_fixup_f64 v[10:11], v[16:17], v[22:23], v[10:11]
.LBB2_73:                               ;   in Loop: Header=BB2_68 Depth=3
	s_add_i32 s39, s39, -1
	s_add_i32 s8, s44, s39
	s_cmp_le_i32 s8, s38
	s_cbranch_scc1 .LBB2_97
; %bb.74:                               ;   in Loop: Header=BB2_68 Depth=3
	s_mov_b64 s[8:9], s[52:53]
	s_mov_b64 s[54:55], s[56:57]
	v_mov_b64_e32 v[16:17], v[22:23]
	v_mov_b64_e32 v[18:19], v[14:15]
	s_branch .LBB2_68
.LBB2_75:                               ;   in Loop: Header=BB2_68 Depth=3
                                        ; implicit-def: $vgpr10_vgpr11
	s_branch .LBB2_72
.LBB2_76:                               ;   in Loop: Header=BB2_54 Depth=2
	s_mov_b32 s38, s8
	s_cbranch_execz .LBB2_53
	s_branch .LBB2_100
.LBB2_77:                               ;   in Loop: Header=BB2_54 Depth=2
	s_mov_b64 s[48:49], -1
	s_mov_b64 s[8:9], 0
                                        ; implicit-def: $sgpr39
.LBB2_78:                               ;   in Loop: Header=BB2_54 Depth=2
	s_and_b64 vcc, exec, s[48:49]
	s_cbranch_vccz .LBB2_99
.LBB2_79:                               ;   in Loop: Header=BB2_54 Depth=2
	s_add_u32 s8, s14, s46
	s_addc_u32 s9, s15, s47
	global_load_dwordx2 v[8:9], v2, s[8:9]
	s_waitcnt vmcnt(0)
	v_cmp_gt_f64_e32 vcc, s[16:17], v[8:9]
	s_and_b64 s[46:47], vcc, exec
	s_cselect_b32 s39, 0x100, 0
	s_cselect_b32 s46, 0xffffff80, 0
	s_ashr_i32 s45, s44, 31
	s_lshl_b64 s[44:45], s[44:45], 3
	s_add_u32 s44, s58, s44
	s_addc_u32 s45, s59, s45
	global_load_dwordx2 v[10:11], v2, s[44:45]
	v_ldexp_f64 v[8:9], v[8:9], s39
	v_rsq_f64_e32 v[12:13], v[8:9]
	v_cmp_class_f64_e32 vcc, v[8:9], v24
	v_mul_f64 v[14:15], v[8:9], v[12:13]
	v_mul_f64 v[12:13], v[12:13], 0.5
	v_fma_f64 v[16:17], -v[12:13], v[14:15], 0.5
	v_fmac_f64_e32 v[14:15], v[14:15], v[16:17]
	v_fmac_f64_e32 v[12:13], v[12:13], v[16:17]
	v_fma_f64 v[16:17], -v[14:15], v[14:15], v[8:9]
	v_fmac_f64_e32 v[14:15], v[16:17], v[12:13]
	v_fma_f64 v[16:17], -v[14:15], v[14:15], v[8:9]
	v_fmac_f64_e32 v[14:15], v[16:17], v[12:13]
	v_ldexp_f64 v[12:13], v[14:15], s46
	v_cndmask_b32_e32 v9, v13, v9, vcc
	v_cndmask_b32_e32 v8, v12, v8, vcc
	v_add_f64 v[16:17], v[8:9], v[8:9]
	s_waitcnt vmcnt(0)
	v_add_f64 v[14:15], v[6:7], -v[10:11]
	v_cmp_ngt_f64_e64 s[46:47], |v[14:15]|, |v[16:17]|
	s_and_b64 vcc, exec, s[46:47]
	s_cbranch_vccz .LBB2_82
; %bb.80:                               ;   in Loop: Header=BB2_54 Depth=2
	v_cmp_nlt_f64_e64 s[46:47], |v[14:15]|, |v[16:17]|
	s_and_b64 vcc, exec, s[46:47]
	s_cbranch_vccz .LBB2_83
; %bb.81:                               ;   in Loop: Header=BB2_54 Depth=2
	v_mul_f64 v[12:13], |v[16:17]|, s[24:25]
	s_cbranch_execz .LBB2_84
	s_branch .LBB2_85
.LBB2_82:                               ;   in Loop: Header=BB2_54 Depth=2
                                        ; implicit-def: $vgpr12_vgpr13
	s_branch .LBB2_86
.LBB2_83:                               ;   in Loop: Header=BB2_54 Depth=2
                                        ; implicit-def: $vgpr12_vgpr13
.LBB2_84:                               ;   in Loop: Header=BB2_54 Depth=2
	v_and_b32_e32 v13, 0x7fffffff, v15
	v_mov_b32_e32 v12, v14
	v_and_b32_e32 v19, 0x7fffffff, v17
	v_mov_b32_e32 v18, v16
	v_div_scale_f64 v[20:21], s[46:47], v[18:19], v[18:19], v[12:13]
	v_rcp_f64_e32 v[22:23], v[20:21]
	v_div_scale_f64 v[12:13], vcc, v[12:13], v[18:19], v[12:13]
	v_fma_f64 v[26:27], -v[20:21], v[22:23], 1.0
	v_fmac_f64_e32 v[22:23], v[22:23], v[26:27]
	v_fma_f64 v[26:27], -v[20:21], v[22:23], 1.0
	v_fmac_f64_e32 v[22:23], v[22:23], v[26:27]
	v_mul_f64 v[18:19], v[12:13], v[22:23]
	v_fma_f64 v[12:13], -v[20:21], v[18:19], v[12:13]
	v_div_fmas_f64 v[12:13], v[12:13], v[22:23], v[18:19]
	v_div_fixup_f64 v[12:13], v[12:13], |v[16:17]|, |v[14:15]|
	v_fma_f64 v[12:13], v[12:13], v[12:13], 1.0
	v_cmp_gt_f64_e32 vcc, s[16:17], v[12:13]
	s_and_b64 s[46:47], vcc, exec
	s_cselect_b32 s39, 0x100, 0
	v_ldexp_f64 v[12:13], v[12:13], s39
	v_rsq_f64_e32 v[18:19], v[12:13]
	s_cselect_b32 s39, 0xffffff80, 0
	v_cmp_class_f64_e32 vcc, v[12:13], v24
	v_mul_f64 v[20:21], v[12:13], v[18:19]
	v_mul_f64 v[18:19], v[18:19], 0.5
	v_fma_f64 v[22:23], -v[18:19], v[20:21], 0.5
	v_fmac_f64_e32 v[20:21], v[20:21], v[22:23]
	v_fma_f64 v[26:27], -v[20:21], v[20:21], v[12:13]
	v_fmac_f64_e32 v[18:19], v[18:19], v[22:23]
	v_fmac_f64_e32 v[20:21], v[26:27], v[18:19]
	v_fma_f64 v[22:23], -v[20:21], v[20:21], v[12:13]
	v_fmac_f64_e32 v[20:21], v[22:23], v[18:19]
	v_ldexp_f64 v[18:19], v[20:21], s39
	v_cndmask_b32_e32 v13, v19, v13, vcc
	v_cndmask_b32_e32 v12, v18, v12, vcc
	v_mul_f64 v[12:13], |v[16:17]|, v[12:13]
.LBB2_85:                               ;   in Loop: Header=BB2_54 Depth=2
	s_cbranch_execnz .LBB2_87
.LBB2_86:                               ;   in Loop: Header=BB2_54 Depth=2
	v_and_b32_e32 v13, 0x7fffffff, v17
	v_mov_b32_e32 v12, v16
	v_and_b32_e32 v19, 0x7fffffff, v15
	v_mov_b32_e32 v18, v14
	v_div_scale_f64 v[20:21], s[46:47], v[18:19], v[18:19], v[12:13]
	v_rcp_f64_e32 v[22:23], v[20:21]
	v_div_scale_f64 v[12:13], vcc, v[12:13], v[18:19], v[12:13]
	v_fma_f64 v[26:27], -v[20:21], v[22:23], 1.0
	v_fmac_f64_e32 v[22:23], v[22:23], v[26:27]
	v_fma_f64 v[26:27], -v[20:21], v[22:23], 1.0
	v_fmac_f64_e32 v[22:23], v[22:23], v[26:27]
	v_mul_f64 v[18:19], v[12:13], v[22:23]
	v_fma_f64 v[12:13], -v[20:21], v[18:19], v[12:13]
	v_div_fmas_f64 v[12:13], v[12:13], v[22:23], v[18:19]
	v_div_fixup_f64 v[12:13], v[12:13], |v[14:15]|, |v[16:17]|
	v_fma_f64 v[12:13], v[12:13], v[12:13], 1.0
	v_cmp_gt_f64_e32 vcc, s[16:17], v[12:13]
	s_and_b64 s[46:47], vcc, exec
	s_cselect_b32 s39, 0x100, 0
	v_ldexp_f64 v[12:13], v[12:13], s39
	v_rsq_f64_e32 v[16:17], v[12:13]
	s_cselect_b32 s39, 0xffffff80, 0
	v_cmp_class_f64_e32 vcc, v[12:13], v24
	v_mul_f64 v[18:19], v[12:13], v[16:17]
	v_mul_f64 v[16:17], v[16:17], 0.5
	v_fma_f64 v[20:21], -v[16:17], v[18:19], 0.5
	v_fmac_f64_e32 v[18:19], v[18:19], v[20:21]
	v_fma_f64 v[22:23], -v[18:19], v[18:19], v[12:13]
	v_fmac_f64_e32 v[16:17], v[16:17], v[20:21]
	v_fmac_f64_e32 v[18:19], v[22:23], v[16:17]
	v_fma_f64 v[20:21], -v[18:19], v[18:19], v[12:13]
	v_fmac_f64_e32 v[18:19], v[20:21], v[16:17]
	v_ldexp_f64 v[16:17], v[18:19], s39
	v_cndmask_b32_e32 v13, v17, v13, vcc
	v_cndmask_b32_e32 v12, v16, v12, vcc
	v_mul_f64 v[12:13], |v[14:15]|, v[12:13]
.LBB2_87:                               ;   in Loop: Header=BB2_54 Depth=2
	v_add_f64 v[16:17], v[6:7], v[10:11]
	v_cmp_gt_f64_e64 vcc, |v[6:7]|, |v[10:11]|
	s_nop 1
	v_cndmask_b32_e32 v15, v7, v11, vcc
	v_cndmask_b32_e32 v14, v6, v10, vcc
	v_cndmask_b32_e32 v7, v11, v7, vcc
	v_cndmask_b32_e32 v6, v10, v6, vcc
	v_cmp_ngt_f64_e32 vcc, 0, v[16:17]
	s_cbranch_vccz .LBB2_90
; %bb.88:                               ;   in Loop: Header=BB2_54 Depth=2
	v_cmp_nlt_f64_e32 vcc, 0, v[16:17]
	s_cbranch_vccz .LBB2_91
; %bb.89:                               ;   in Loop: Header=BB2_54 Depth=2
	v_mul_f64 v[10:11], v[12:13], 0.5
	v_mul_f64 v[18:19], v[12:13], -0.5
	s_cbranch_execz .LBB2_92
	s_branch .LBB2_93
.LBB2_90:                               ;   in Loop: Header=BB2_54 Depth=2
                                        ; implicit-def: $vgpr18_vgpr19
                                        ; implicit-def: $vgpr10_vgpr11
	s_branch .LBB2_94
.LBB2_91:                               ;   in Loop: Header=BB2_54 Depth=2
                                        ; implicit-def: $vgpr18_vgpr19
                                        ; implicit-def: $vgpr10_vgpr11
.LBB2_92:                               ;   in Loop: Header=BB2_54 Depth=2
	v_add_f64 v[10:11], v[16:17], v[12:13]
	v_mul_f64 v[10:11], v[10:11], 0.5
	v_div_scale_f64 v[18:19], s[46:47], v[10:11], v[10:11], v[6:7]
	v_rcp_f64_e32 v[20:21], v[18:19]
	v_div_scale_f64 v[22:23], vcc, v[6:7], v[10:11], v[6:7]
	v_fma_f64 v[26:27], -v[18:19], v[20:21], 1.0
	v_fmac_f64_e32 v[20:21], v[20:21], v[26:27]
	v_fma_f64 v[26:27], -v[18:19], v[20:21], 1.0
	v_fmac_f64_e32 v[20:21], v[20:21], v[26:27]
	v_mul_f64 v[26:27], v[22:23], v[20:21]
	v_fma_f64 v[18:19], -v[18:19], v[26:27], v[22:23]
	v_div_scale_f64 v[22:23], s[46:47], v[10:11], v[10:11], v[8:9]
	v_rcp_f64_e32 v[28:29], v[22:23]
	v_div_fmas_f64 v[18:19], v[18:19], v[20:21], v[26:27]
	v_div_fixup_f64 v[18:19], v[18:19], v[10:11], v[6:7]
	v_fma_f64 v[20:21], -v[22:23], v[28:29], 1.0
	v_fmac_f64_e32 v[28:29], v[28:29], v[20:21]
	v_fma_f64 v[20:21], -v[22:23], v[28:29], 1.0
	v_fmac_f64_e32 v[28:29], v[28:29], v[20:21]
	v_div_scale_f64 v[20:21], vcc, v[8:9], v[10:11], v[8:9]
	v_mul_f64 v[26:27], v[20:21], v[28:29]
	v_fma_f64 v[20:21], -v[22:23], v[26:27], v[20:21]
	s_nop 1
	v_div_fmas_f64 v[20:21], v[20:21], v[28:29], v[26:27]
	v_div_fixup_f64 v[20:21], v[20:21], v[10:11], v[8:9]
	v_mul_f64 v[20:21], v[8:9], v[20:21]
	v_fma_f64 v[18:19], v[14:15], v[18:19], -v[20:21]
.LBB2_93:                               ;   in Loop: Header=BB2_54 Depth=2
	s_cbranch_execnz .LBB2_95
.LBB2_94:                               ;   in Loop: Header=BB2_54 Depth=2
	v_add_f64 v[10:11], v[16:17], -v[12:13]
	v_mul_f64 v[10:11], v[10:11], 0.5
	v_div_scale_f64 v[12:13], s[46:47], v[10:11], v[10:11], v[6:7]
	v_rcp_f64_e32 v[16:17], v[12:13]
	v_div_scale_f64 v[18:19], vcc, v[6:7], v[10:11], v[6:7]
	v_fma_f64 v[20:21], -v[12:13], v[16:17], 1.0
	v_fmac_f64_e32 v[16:17], v[16:17], v[20:21]
	v_fma_f64 v[20:21], -v[12:13], v[16:17], 1.0
	v_fmac_f64_e32 v[16:17], v[16:17], v[20:21]
	v_mul_f64 v[20:21], v[18:19], v[16:17]
	v_fma_f64 v[12:13], -v[12:13], v[20:21], v[18:19]
	v_div_scale_f64 v[18:19], s[46:47], v[10:11], v[10:11], v[8:9]
	v_rcp_f64_e32 v[22:23], v[18:19]
	v_div_fmas_f64 v[12:13], v[12:13], v[16:17], v[20:21]
	v_div_fixup_f64 v[6:7], v[12:13], v[10:11], v[6:7]
	v_fma_f64 v[12:13], -v[18:19], v[22:23], 1.0
	v_fmac_f64_e32 v[22:23], v[22:23], v[12:13]
	v_fma_f64 v[12:13], -v[18:19], v[22:23], 1.0
	v_fmac_f64_e32 v[22:23], v[22:23], v[12:13]
	v_div_scale_f64 v[12:13], vcc, v[8:9], v[10:11], v[8:9]
	v_mul_f64 v[16:17], v[12:13], v[22:23]
	v_fma_f64 v[12:13], -v[18:19], v[16:17], v[12:13]
	s_nop 1
	v_div_fmas_f64 v[12:13], v[12:13], v[22:23], v[16:17]
	v_div_fixup_f64 v[12:13], v[12:13], v[10:11], v[8:9]
	v_mul_f64 v[8:9], v[8:9], v[12:13]
	v_fma_f64 v[18:19], v[14:15], v[6:7], -v[8:9]
.LBB2_95:                               ;   in Loop: Header=BB2_54 Depth=2
	global_store_dwordx2 v2, v[10:11], s[42:43]
	global_store_dwordx2 v2, v[18:19], s[44:45]
	;; [unrolled: 1-line block ×3, first 2 shown]
	s_add_i32 s38, s38, 2
	s_cbranch_execz .LBB2_53
	s_branch .LBB2_100
.LBB2_96:                               ;   in Loop: Header=BB2_54 Depth=2
	v_mov_b64_e32 v[14:15], v[18:19]
.LBB2_97:                               ;   in Loop: Header=BB2_54 Depth=2
	v_mov_b64_e32 v[16:17], v[10:11]
.LBB2_98:                               ;   in Loop: Header=BB2_54 Depth=2
	v_mul_f64 v[10:11], v[12:13], v[16:17]
	v_add_f64 v[8:9], v[8:9], v[14:15]
	s_add_i32 s39, s37, 1
	global_store_dwordx2 v2, v[10:11], s[50:51]
	global_store_dwordx2 v2, v[8:9], s[42:43]
	s_mov_b64 s[8:9], -1
	s_and_b64 vcc, exec, s[48:49]
	s_cbranch_vccnz .LBB2_79
.LBB2_99:                               ;   in Loop: Header=BB2_54 Depth=2
	s_mov_b32 s37, s39
	s_and_b64 vcc, exec, s[8:9]
	s_cbranch_vccz .LBB2_53
.LBB2_100:                              ;   in Loop: Header=BB2_54 Depth=2
	s_cmp_gt_i32 s38, s29
	s_cselect_b64 s[8:9], -1, 0
	s_cmp_ge_i32 s37, s60
	s_cselect_b64 s[40:41], -1, 0
	s_or_b64 s[40:41], s[8:9], s[40:41]
	s_branch .LBB2_53
.LBB2_101:                              ;   in Loop: Header=BB2_102 Depth=2
	s_andn2_b64 vcc, exec, s[8:9]
	s_cbranch_vccz .LBB2_43
.LBB2_102:                              ;   Parent Loop BB2_3 Depth=1
                                        ; =>  This Loop Header: Depth=2
                                        ;       Child Loop BB2_104 Depth 3
                                        ;       Child Loop BB2_117 Depth 3
	s_ashr_i32 s37, s36, 31
	s_min_i32 s40, s29, s36
	s_lshl_b64 s[6:7], s[36:37], 3
	s_add_u32 s38, s66, s6
	s_addc_u32 s39, s67, s7
	s_add_u32 s8, s70, s6
	s_addc_u32 s9, s71, s7
	s_mov_b32 s37, s36
	s_mov_b64 s[42:43], -1
	s_cmp_le_i32 s37, s29
	s_mov_b64 s[44:45], -1
                                        ; implicit-def: $sgpr41
	s_cbranch_scc1 .LBB2_104
.LBB2_103:                              ;   in Loop: Header=BB2_102 Depth=2
	global_load_dwordx4 v[6:9], v2, s[38:39] offset:-8
	global_load_dwordx2 v[10:11], v2, s[8:9] offset:-16
	s_add_i32 s41, s37, -1
	s_add_u32 s38, s38, -8
	s_addc_u32 s39, s39, -1
	s_add_u32 s8, s8, -8
	s_mov_b64 s[42:43], 0
	s_addc_u32 s9, s9, -1
	s_waitcnt vmcnt(1)
	v_mul_f64 v[6:7], v[8:9], v[6:7]
	v_mul_f64 v[6:7], v[0:1], |v[6:7]|
	s_waitcnt vmcnt(0)
	v_cmp_le_f64_e64 s[44:45], |v[10:11]|, v[6:7]
.LBB2_104:                              ;   Parent Loop BB2_3 Depth=1
                                        ;     Parent Loop BB2_102 Depth=2
                                        ; =>    This Inner Loop Header: Depth=3
	s_andn2_b64 vcc, exec, s[44:45]
	s_cbranch_vccz .LBB2_106
; %bb.105:                              ;   in Loop: Header=BB2_104 Depth=3
	s_mov_b32 s37, s41
	s_mov_b64 s[42:43], -1
	s_cmp_le_i32 s37, s29
	s_mov_b64 s[44:45], -1
                                        ; implicit-def: $sgpr41
	s_cbranch_scc0 .LBB2_103
	s_branch .LBB2_104
.LBB2_106:                              ;   in Loop: Header=BB2_102 Depth=2
	s_andn2_b64 vcc, exec, s[42:43]
	s_cbranch_vccz .LBB2_108
; %bb.107:                              ;   in Loop: Header=BB2_102 Depth=2
	s_mov_b32 s40, s37
	global_store_dwordx2 v2, v[2:3], s[8:9] offset:-8
.LBB2_108:                              ;   in Loop: Header=BB2_102 Depth=2
	s_add_i32 s37, s36, -1
	s_cmp_eq_u32 s40, s36
	s_mov_b64 s[8:9], -1
	s_cbranch_scc1 .LBB2_123
; %bb.109:                              ;   in Loop: Header=BB2_102 Depth=2
	s_add_u32 s38, s58, s6
	s_addc_u32 s39, s59, s7
	global_load_dwordx2 v[6:7], v2, s[38:39]
	s_cmp_lg_u32 s40, s37
	s_cbranch_scc0 .LBB2_124
; %bb.110:                              ;   in Loop: Header=BB2_102 Depth=2
	s_mov_b64 s[42:43], 0
	s_cmp_lg_u32 s73, s60
	s_mov_b32 s37, s60
	s_mov_b64 s[44:45], 0
	s_cbranch_scc0 .LBB2_125
; %bb.111:                              ;   in Loop: Header=BB2_102 Depth=2
	s_add_u32 s44, s14, s6
	s_addc_u32 s45, s15, s7
	global_load_dwordx2 v[8:9], v2, s[44:45] offset:-8
	global_load_dwordx2 v[10:11], v2, s[38:39] offset:-8
	s_waitcnt vmcnt(1)
	v_cmp_gt_f64_e32 vcc, s[16:17], v[8:9]
	s_and_b64 s[6:7], vcc, exec
	s_cselect_b32 s6, 0x100, 0
	v_ldexp_f64 v[8:9], v[8:9], s6
	v_rsq_f64_e32 v[12:13], v[8:9]
	s_cselect_b32 s6, 0xffffff80, 0
	v_cmp_class_f64_e32 vcc, v[8:9], v24
	s_waitcnt vmcnt(0)
	v_add_f64 v[10:11], v[10:11], -v[6:7]
	v_mul_f64 v[14:15], v[8:9], v[12:13]
	v_mul_f64 v[12:13], v[12:13], 0.5
	v_fma_f64 v[16:17], -v[12:13], v[14:15], 0.5
	v_fmac_f64_e32 v[14:15], v[14:15], v[16:17]
	v_fmac_f64_e32 v[12:13], v[12:13], v[16:17]
	v_fma_f64 v[16:17], -v[14:15], v[14:15], v[8:9]
	v_fmac_f64_e32 v[14:15], v[16:17], v[12:13]
	v_fma_f64 v[16:17], -v[14:15], v[14:15], v[8:9]
	v_fmac_f64_e32 v[14:15], v[16:17], v[12:13]
	v_ldexp_f64 v[12:13], v[14:15], s6
	v_cndmask_b32_e32 v9, v13, v9, vcc
	v_cndmask_b32_e32 v8, v12, v8, vcc
	v_add_f64 v[12:13], v[8:9], v[8:9]
	v_div_scale_f64 v[14:15], s[6:7], v[12:13], v[12:13], v[10:11]
	v_rcp_f64_e32 v[16:17], v[14:15]
	v_div_scale_f64 v[18:19], vcc, v[10:11], v[12:13], v[10:11]
	v_fma_f64 v[20:21], -v[14:15], v[16:17], 1.0
	v_fmac_f64_e32 v[16:17], v[16:17], v[20:21]
	v_fma_f64 v[20:21], -v[14:15], v[16:17], 1.0
	v_fmac_f64_e32 v[16:17], v[16:17], v[20:21]
	v_mul_f64 v[20:21], v[18:19], v[16:17]
	v_fma_f64 v[14:15], -v[14:15], v[20:21], v[18:19]
	v_div_fmas_f64 v[14:15], v[14:15], v[16:17], v[20:21]
	v_div_fixup_f64 v[10:11], v[14:15], v[12:13], v[10:11]
	v_fma_f64 v[12:13], v[10:11], v[10:11], 1.0
	v_cmp_gt_f64_e32 vcc, s[16:17], v[12:13]
	s_and_b64 s[6:7], vcc, exec
	s_cselect_b32 s37, 0x100, 0
	s_cselect_b32 s48, 0xffffff80, 0
	s_ashr_i32 s41, s40, 31
	s_lshl_b64 s[6:7], s[40:41], 3
	s_add_u32 s46, s58, s6
	s_addc_u32 s47, s59, s7
	global_load_dwordx2 v[14:15], v2, s[46:47]
	v_ldexp_f64 v[12:13], v[12:13], s37
	v_rsq_f64_e32 v[16:17], v[12:13]
	v_cmp_class_f64_e32 vcc, v[12:13], v24
	s_cmp_ge_i32 s40, s36
	v_mul_f64 v[18:19], v[12:13], v[16:17]
	v_mul_f64 v[16:17], v[16:17], 0.5
	v_fma_f64 v[20:21], -v[16:17], v[18:19], 0.5
	v_fmac_f64_e32 v[18:19], v[18:19], v[20:21]
	v_fmac_f64_e32 v[16:17], v[16:17], v[20:21]
	v_fma_f64 v[20:21], -v[18:19], v[18:19], v[12:13]
	v_fmac_f64_e32 v[18:19], v[20:21], v[16:17]
	v_fma_f64 v[20:21], -v[18:19], v[18:19], v[12:13]
	v_fmac_f64_e32 v[18:19], v[20:21], v[16:17]
	v_ldexp_f64 v[16:17], v[18:19], s48
	v_cndmask_b32_e32 v13, v17, v13, vcc
	v_cndmask_b32_e32 v12, v16, v12, vcc
	v_and_b32_e32 v16, 0x7fffffff, v13
	v_or_b32_e32 v13, 0x80000000, v13
	v_cmp_nle_f64_e32 vcc, 0, v[10:11]
	s_nop 1
	v_cndmask_b32_e32 v13, v16, v13, vcc
	v_add_f64 v[10:11], v[10:11], v[12:13]
	v_div_scale_f64 v[12:13], s[48:49], v[10:11], v[10:11], v[8:9]
	v_rcp_f64_e32 v[16:17], v[12:13]
	v_div_scale_f64 v[18:19], vcc, v[8:9], v[10:11], v[8:9]
	v_fma_f64 v[20:21], -v[12:13], v[16:17], 1.0
	v_fmac_f64_e32 v[16:17], v[16:17], v[20:21]
	v_fma_f64 v[20:21], -v[12:13], v[16:17], 1.0
	v_fmac_f64_e32 v[16:17], v[16:17], v[20:21]
	v_mul_f64 v[20:21], v[18:19], v[16:17]
	v_fma_f64 v[12:13], -v[12:13], v[20:21], v[18:19]
	v_div_fmas_f64 v[12:13], v[12:13], v[16:17], v[20:21]
	v_div_fixup_f64 v[8:9], v[12:13], v[10:11], v[8:9]
	v_add_f64 v[8:9], v[6:7], -v[8:9]
	v_mov_b64_e32 v[12:13], 0
	s_waitcnt vmcnt(0)
	v_add_f64 v[14:15], v[14:15], -v[8:9]
	v_mul_f64 v[16:17], v[14:15], v[14:15]
	s_cbranch_scc1 .LBB2_145
; %bb.112:                              ;   in Loop: Header=BB2_102 Depth=2
	s_add_u32 s6, s14, s6
	s_addc_u32 s7, s15, s7
	global_load_dwordx2 v[10:11], v2, s[6:7]
	global_load_dwordx2 v[20:21], v2, s[46:47] offset:8
	s_waitcnt vmcnt(1)
	v_add_f64 v[12:13], v[16:17], v[10:11]
	v_div_scale_f64 v[22:23], s[6:7], v[12:13], v[12:13], v[16:17]
	v_div_scale_f64 v[28:29], s[6:7], v[12:13], v[12:13], v[10:11]
	v_rcp_f64_e32 v[30:31], v[22:23]
	v_rcp_f64_e32 v[32:33], v[28:29]
	v_div_scale_f64 v[26:27], vcc, v[16:17], v[12:13], v[16:17]
	v_fma_f64 v[36:37], -v[22:23], v[30:31], 1.0
	v_fma_f64 v[38:39], -v[28:29], v[32:33], 1.0
	v_fmac_f64_e32 v[30:31], v[30:31], v[36:37]
	v_fmac_f64_e32 v[32:33], v[32:33], v[38:39]
	v_fma_f64 v[36:37], -v[22:23], v[30:31], 1.0
	v_fma_f64 v[38:39], -v[28:29], v[32:33], 1.0
	v_fmac_f64_e32 v[30:31], v[30:31], v[36:37]
	v_div_scale_f64 v[34:35], s[6:7], v[10:11], v[12:13], v[10:11]
	v_fmac_f64_e32 v[32:33], v[32:33], v[38:39]
	v_mul_f64 v[36:37], v[26:27], v[30:31]
	v_mul_f64 v[38:39], v[34:35], v[32:33]
	v_fma_f64 v[22:23], -v[22:23], v[36:37], v[26:27]
	v_fma_f64 v[26:27], -v[28:29], v[38:39], v[34:35]
	v_div_fmas_f64 v[22:23], v[22:23], v[30:31], v[36:37]
	s_mov_b64 vcc, s[6:7]
	v_div_fixup_f64 v[16:17], v[22:23], v[12:13], v[16:17]
	v_div_fmas_f64 v[22:23], v[26:27], v[32:33], v[38:39]
	v_div_fixup_f64 v[12:13], v[22:23], v[12:13], v[10:11]
	s_waitcnt vmcnt(0)
	v_add_f64 v[18:19], v[20:21], -v[8:9]
	v_mul_f64 v[22:23], v[14:15], v[12:13]
	v_fma_f64 v[18:19], v[16:17], v[18:19], -v[22:23]
	v_cmp_eq_f64_e32 vcc, 0, v[16:17]
	v_add_f64 v[20:21], v[20:21], -v[18:19]
	v_add_f64 v[14:15], v[14:15], v[20:21]
	global_store_dwordx2 v2, v[14:15], s[46:47]
	s_cbranch_vccnz .LBB2_114
; %bb.113:                              ;   in Loop: Header=BB2_102 Depth=2
	v_mul_f64 v[10:11], v[18:19], v[18:19]
	v_div_scale_f64 v[14:15], s[6:7], v[16:17], v[16:17], v[10:11]
	v_rcp_f64_e32 v[20:21], v[14:15]
	v_div_scale_f64 v[22:23], vcc, v[10:11], v[16:17], v[10:11]
	v_fma_f64 v[26:27], -v[14:15], v[20:21], 1.0
	v_fmac_f64_e32 v[20:21], v[20:21], v[26:27]
	v_fma_f64 v[26:27], -v[14:15], v[20:21], 1.0
	v_fmac_f64_e32 v[20:21], v[20:21], v[26:27]
	v_mul_f64 v[26:27], v[22:23], v[20:21]
	v_fma_f64 v[14:15], -v[14:15], v[26:27], v[22:23]
	v_div_fmas_f64 v[14:15], v[14:15], v[20:21], v[26:27]
	v_div_fixup_f64 v[10:11], v[14:15], v[16:17], v[10:11]
.LBB2_114:                              ;   in Loop: Header=BB2_102 Depth=2
	s_add_i32 s6, s40, 1
	s_cmp_ge_i32 s6, s36
	s_cbranch_scc1 .LBB2_143
; %bb.115:                              ;   in Loop: Header=BB2_102 Depth=2
	s_ashr_i32 s7, s6, 31
	s_lshl_b64 s[6:7], s[6:7], 3
	s_add_u32 s46, s62, s6
	s_addc_u32 s47, s63, s7
	s_add_u32 s48, s68, s6
	s_addc_u32 s49, s69, s7
	s_mov_b32 s37, 1
	global_load_dwordx2 v[20:21], v2, s[46:47]
	s_cmp_eq_u32 s37, 0
	s_waitcnt vmcnt(0)
	v_add_f64 v[14:15], v[10:11], v[20:21]
	s_cbranch_scc1 .LBB2_117
.LBB2_116:                              ;   in Loop: Header=BB2_102 Depth=2
	v_mul_f64 v[12:13], v[12:13], v[14:15]
	global_store_dwordx2 v2, v[12:13], s[46:47] offset:-8
.LBB2_117:                              ;   Parent Loop BB2_3 Depth=1
                                        ;     Parent Loop BB2_102 Depth=2
                                        ; =>    This Inner Loop Header: Depth=3
	global_load_dwordx2 v[26:27], v2, s[48:49]
	v_div_scale_f64 v[12:13], s[6:7], v[14:15], v[14:15], v[10:11]
	v_div_scale_f64 v[28:29], s[6:7], v[14:15], v[14:15], v[20:21]
	v_rcp_f64_e32 v[30:31], v[12:13]
	v_rcp_f64_e32 v[32:33], v[28:29]
	v_div_scale_f64 v[22:23], vcc, v[10:11], v[14:15], v[10:11]
	v_fma_f64 v[36:37], -v[12:13], v[30:31], 1.0
	v_fma_f64 v[38:39], -v[28:29], v[32:33], 1.0
	v_fmac_f64_e32 v[30:31], v[30:31], v[36:37]
	v_fmac_f64_e32 v[32:33], v[32:33], v[38:39]
	v_fma_f64 v[36:37], -v[12:13], v[30:31], 1.0
	v_fma_f64 v[38:39], -v[28:29], v[32:33], 1.0
	v_fmac_f64_e32 v[30:31], v[30:31], v[36:37]
	v_div_scale_f64 v[34:35], s[6:7], v[20:21], v[14:15], v[20:21]
	v_fmac_f64_e32 v[32:33], v[32:33], v[38:39]
	v_mul_f64 v[36:37], v[22:23], v[30:31]
	v_mul_f64 v[38:39], v[34:35], v[32:33]
	v_fma_f64 v[12:13], -v[12:13], v[36:37], v[22:23]
	v_fma_f64 v[28:29], -v[28:29], v[38:39], v[34:35]
	v_div_fmas_f64 v[12:13], v[12:13], v[30:31], v[36:37]
	s_mov_b64 vcc, s[6:7]
	v_div_fixup_f64 v[22:23], v[12:13], v[14:15], v[10:11]
	v_div_fmas_f64 v[10:11], v[28:29], v[32:33], v[38:39]
	v_div_fixup_f64 v[12:13], v[10:11], v[14:15], v[20:21]
	v_mul_f64 v[10:11], v[18:19], v[12:13]
	v_cmp_eq_f64_e32 vcc, 0, v[22:23]
	s_and_b64 vcc, exec, vcc
	s_waitcnt vmcnt(0)
	v_add_f64 v[14:15], v[26:27], -v[8:9]
	v_fma_f64 v[14:15], v[22:23], v[14:15], -v[10:11]
	v_add_f64 v[10:11], v[26:27], -v[14:15]
	v_add_f64 v[10:11], v[18:19], v[10:11]
	global_store_dwordx2 v2, v[10:11], s[48:49] offset:-8
	s_cbranch_vccz .LBB2_122
; %bb.118:                              ;   in Loop: Header=BB2_117 Depth=3
	v_mul_f64 v[10:11], v[16:17], v[20:21]
	s_cbranch_execnz .LBB2_120
.LBB2_119:                              ;   in Loop: Header=BB2_117 Depth=3
	v_mul_f64 v[10:11], v[14:15], v[14:15]
	v_div_scale_f64 v[16:17], s[6:7], v[22:23], v[22:23], v[10:11]
	v_rcp_f64_e32 v[18:19], v[16:17]
	v_div_scale_f64 v[20:21], vcc, v[10:11], v[22:23], v[10:11]
	v_fma_f64 v[26:27], -v[16:17], v[18:19], 1.0
	v_fmac_f64_e32 v[18:19], v[18:19], v[26:27]
	v_fma_f64 v[26:27], -v[16:17], v[18:19], 1.0
	v_fmac_f64_e32 v[18:19], v[18:19], v[26:27]
	v_mul_f64 v[26:27], v[20:21], v[18:19]
	v_fma_f64 v[16:17], -v[16:17], v[26:27], v[20:21]
	v_div_fmas_f64 v[16:17], v[16:17], v[18:19], v[26:27]
	v_div_fixup_f64 v[10:11], v[16:17], v[22:23], v[10:11]
.LBB2_120:                              ;   in Loop: Header=BB2_117 Depth=3
	s_add_i32 s37, s37, 1
	s_add_i32 s6, s40, s37
	s_add_u32 s46, s46, 8
	s_addc_u32 s47, s47, 0
	s_add_u32 s48, s48, 8
	s_addc_u32 s49, s49, 0
	s_cmp_ge_i32 s6, s36
	s_cbranch_scc1 .LBB2_144
; %bb.121:                              ;   in Loop: Header=BB2_117 Depth=3
	v_mov_b64_e32 v[16:17], v[22:23]
	v_mov_b64_e32 v[18:19], v[14:15]
	global_load_dwordx2 v[20:21], v2, s[46:47]
	s_cmp_eq_u32 s37, 0
	s_waitcnt vmcnt(0)
	v_add_f64 v[14:15], v[10:11], v[20:21]
	s_cbranch_scc0 .LBB2_116
	s_branch .LBB2_117
.LBB2_122:                              ;   in Loop: Header=BB2_117 Depth=3
                                        ; implicit-def: $vgpr10_vgpr11
	s_branch .LBB2_119
.LBB2_123:                              ;   in Loop: Header=BB2_102 Depth=2
	s_mov_b32 s36, s37
	s_cbranch_execz .LBB2_101
	s_branch .LBB2_147
.LBB2_124:                              ;   in Loop: Header=BB2_102 Depth=2
	s_mov_b64 s[42:43], -1
	s_mov_b64 s[44:45], 0
                                        ; implicit-def: $sgpr37
.LBB2_125:                              ;   in Loop: Header=BB2_102 Depth=2
	s_and_b64 vcc, exec, s[42:43]
	s_cbranch_vccz .LBB2_146
.LBB2_126:                              ;   in Loop: Header=BB2_102 Depth=2
	s_ashr_i32 s41, s40, 31
	s_lshl_b64 s[40:41], s[40:41], 3
	s_add_u32 s6, s14, s40
	s_addc_u32 s7, s15, s41
	global_load_dwordx2 v[8:9], v2, s[6:7]
	s_waitcnt vmcnt(0)
	v_cmp_gt_f64_e32 vcc, s[16:17], v[8:9]
	s_and_b64 s[42:43], vcc, exec
	s_cselect_b32 s37, 0x100, 0
	s_cselect_b32 s42, 0xffffff80, 0
	s_add_u32 s40, s58, s40
	s_addc_u32 s41, s59, s41
	global_load_dwordx2 v[10:11], v2, s[40:41]
	v_ldexp_f64 v[8:9], v[8:9], s37
	v_rsq_f64_e32 v[12:13], v[8:9]
	v_cmp_class_f64_e32 vcc, v[8:9], v24
	v_mul_f64 v[14:15], v[8:9], v[12:13]
	v_mul_f64 v[12:13], v[12:13], 0.5
	v_fma_f64 v[16:17], -v[12:13], v[14:15], 0.5
	v_fmac_f64_e32 v[14:15], v[14:15], v[16:17]
	v_fmac_f64_e32 v[12:13], v[12:13], v[16:17]
	v_fma_f64 v[16:17], -v[14:15], v[14:15], v[8:9]
	v_fmac_f64_e32 v[14:15], v[16:17], v[12:13]
	v_fma_f64 v[16:17], -v[14:15], v[14:15], v[8:9]
	v_fmac_f64_e32 v[14:15], v[16:17], v[12:13]
	v_ldexp_f64 v[12:13], v[14:15], s42
	v_cndmask_b32_e32 v9, v13, v9, vcc
	v_cndmask_b32_e32 v8, v12, v8, vcc
	v_add_f64 v[16:17], v[8:9], v[8:9]
	s_waitcnt vmcnt(0)
	v_add_f64 v[14:15], v[6:7], -v[10:11]
	v_cmp_ngt_f64_e64 s[42:43], |v[14:15]|, |v[16:17]|
	s_and_b64 vcc, exec, s[42:43]
	s_cbranch_vccz .LBB2_129
; %bb.127:                              ;   in Loop: Header=BB2_102 Depth=2
	v_cmp_nlt_f64_e64 s[42:43], |v[14:15]|, |v[16:17]|
	s_and_b64 vcc, exec, s[42:43]
	s_cbranch_vccz .LBB2_130
; %bb.128:                              ;   in Loop: Header=BB2_102 Depth=2
	v_mul_f64 v[12:13], |v[16:17]|, s[24:25]
	s_cbranch_execz .LBB2_131
	s_branch .LBB2_132
.LBB2_129:                              ;   in Loop: Header=BB2_102 Depth=2
                                        ; implicit-def: $vgpr12_vgpr13
	s_branch .LBB2_133
.LBB2_130:                              ;   in Loop: Header=BB2_102 Depth=2
                                        ; implicit-def: $vgpr12_vgpr13
.LBB2_131:                              ;   in Loop: Header=BB2_102 Depth=2
	v_and_b32_e32 v13, 0x7fffffff, v15
	v_mov_b32_e32 v12, v14
	v_and_b32_e32 v19, 0x7fffffff, v17
	v_mov_b32_e32 v18, v16
	v_div_scale_f64 v[20:21], s[42:43], v[18:19], v[18:19], v[12:13]
	v_rcp_f64_e32 v[22:23], v[20:21]
	v_div_scale_f64 v[12:13], vcc, v[12:13], v[18:19], v[12:13]
	v_fma_f64 v[26:27], -v[20:21], v[22:23], 1.0
	v_fmac_f64_e32 v[22:23], v[22:23], v[26:27]
	v_fma_f64 v[26:27], -v[20:21], v[22:23], 1.0
	v_fmac_f64_e32 v[22:23], v[22:23], v[26:27]
	v_mul_f64 v[18:19], v[12:13], v[22:23]
	v_fma_f64 v[12:13], -v[20:21], v[18:19], v[12:13]
	v_div_fmas_f64 v[12:13], v[12:13], v[22:23], v[18:19]
	v_div_fixup_f64 v[12:13], v[12:13], |v[16:17]|, |v[14:15]|
	v_fma_f64 v[12:13], v[12:13], v[12:13], 1.0
	v_cmp_gt_f64_e32 vcc, s[16:17], v[12:13]
	s_and_b64 s[42:43], vcc, exec
	s_cselect_b32 s37, 0x100, 0
	v_ldexp_f64 v[12:13], v[12:13], s37
	v_rsq_f64_e32 v[18:19], v[12:13]
	s_cselect_b32 s37, 0xffffff80, 0
	v_cmp_class_f64_e32 vcc, v[12:13], v24
	v_mul_f64 v[20:21], v[12:13], v[18:19]
	v_mul_f64 v[18:19], v[18:19], 0.5
	v_fma_f64 v[22:23], -v[18:19], v[20:21], 0.5
	v_fmac_f64_e32 v[20:21], v[20:21], v[22:23]
	v_fma_f64 v[26:27], -v[20:21], v[20:21], v[12:13]
	v_fmac_f64_e32 v[18:19], v[18:19], v[22:23]
	v_fmac_f64_e32 v[20:21], v[26:27], v[18:19]
	v_fma_f64 v[22:23], -v[20:21], v[20:21], v[12:13]
	v_fmac_f64_e32 v[20:21], v[22:23], v[18:19]
	v_ldexp_f64 v[18:19], v[20:21], s37
	v_cndmask_b32_e32 v13, v19, v13, vcc
	v_cndmask_b32_e32 v12, v18, v12, vcc
	v_mul_f64 v[12:13], |v[16:17]|, v[12:13]
.LBB2_132:                              ;   in Loop: Header=BB2_102 Depth=2
	s_cbranch_execnz .LBB2_134
.LBB2_133:                              ;   in Loop: Header=BB2_102 Depth=2
	v_and_b32_e32 v13, 0x7fffffff, v17
	v_mov_b32_e32 v12, v16
	v_and_b32_e32 v19, 0x7fffffff, v15
	v_mov_b32_e32 v18, v14
	v_div_scale_f64 v[20:21], s[42:43], v[18:19], v[18:19], v[12:13]
	v_rcp_f64_e32 v[22:23], v[20:21]
	v_div_scale_f64 v[12:13], vcc, v[12:13], v[18:19], v[12:13]
	v_fma_f64 v[26:27], -v[20:21], v[22:23], 1.0
	v_fmac_f64_e32 v[22:23], v[22:23], v[26:27]
	v_fma_f64 v[26:27], -v[20:21], v[22:23], 1.0
	v_fmac_f64_e32 v[22:23], v[22:23], v[26:27]
	v_mul_f64 v[18:19], v[12:13], v[22:23]
	v_fma_f64 v[12:13], -v[20:21], v[18:19], v[12:13]
	v_div_fmas_f64 v[12:13], v[12:13], v[22:23], v[18:19]
	v_div_fixup_f64 v[12:13], v[12:13], |v[14:15]|, |v[16:17]|
	v_fma_f64 v[12:13], v[12:13], v[12:13], 1.0
	v_cmp_gt_f64_e32 vcc, s[16:17], v[12:13]
	s_and_b64 s[42:43], vcc, exec
	s_cselect_b32 s37, 0x100, 0
	v_ldexp_f64 v[12:13], v[12:13], s37
	v_rsq_f64_e32 v[16:17], v[12:13]
	s_cselect_b32 s37, 0xffffff80, 0
	v_cmp_class_f64_e32 vcc, v[12:13], v24
	v_mul_f64 v[18:19], v[12:13], v[16:17]
	v_mul_f64 v[16:17], v[16:17], 0.5
	v_fma_f64 v[20:21], -v[16:17], v[18:19], 0.5
	v_fmac_f64_e32 v[18:19], v[18:19], v[20:21]
	v_fma_f64 v[22:23], -v[18:19], v[18:19], v[12:13]
	v_fmac_f64_e32 v[16:17], v[16:17], v[20:21]
	v_fmac_f64_e32 v[18:19], v[22:23], v[16:17]
	v_fma_f64 v[20:21], -v[18:19], v[18:19], v[12:13]
	v_fmac_f64_e32 v[18:19], v[20:21], v[16:17]
	v_ldexp_f64 v[16:17], v[18:19], s37
	v_cndmask_b32_e32 v13, v17, v13, vcc
	v_cndmask_b32_e32 v12, v16, v12, vcc
	v_mul_f64 v[12:13], |v[14:15]|, v[12:13]
.LBB2_134:                              ;   in Loop: Header=BB2_102 Depth=2
	v_add_f64 v[16:17], v[6:7], v[10:11]
	v_cmp_gt_f64_e64 vcc, |v[6:7]|, |v[10:11]|
	s_nop 1
	v_cndmask_b32_e32 v15, v7, v11, vcc
	v_cndmask_b32_e32 v14, v6, v10, vcc
	;; [unrolled: 1-line block ×4, first 2 shown]
	v_cmp_ngt_f64_e32 vcc, 0, v[16:17]
	s_cbranch_vccz .LBB2_137
; %bb.135:                              ;   in Loop: Header=BB2_102 Depth=2
	v_cmp_nlt_f64_e32 vcc, 0, v[16:17]
	s_cbranch_vccz .LBB2_138
; %bb.136:                              ;   in Loop: Header=BB2_102 Depth=2
	v_mul_f64 v[10:11], v[12:13], 0.5
	v_mul_f64 v[18:19], v[12:13], -0.5
	s_cbranch_execz .LBB2_139
	s_branch .LBB2_140
.LBB2_137:                              ;   in Loop: Header=BB2_102 Depth=2
                                        ; implicit-def: $vgpr18_vgpr19
                                        ; implicit-def: $vgpr10_vgpr11
	s_branch .LBB2_141
.LBB2_138:                              ;   in Loop: Header=BB2_102 Depth=2
                                        ; implicit-def: $vgpr18_vgpr19
                                        ; implicit-def: $vgpr10_vgpr11
.LBB2_139:                              ;   in Loop: Header=BB2_102 Depth=2
	v_add_f64 v[10:11], v[16:17], v[12:13]
	v_mul_f64 v[10:11], v[10:11], 0.5
	v_div_scale_f64 v[18:19], s[42:43], v[10:11], v[10:11], v[6:7]
	v_rcp_f64_e32 v[20:21], v[18:19]
	v_div_scale_f64 v[22:23], vcc, v[6:7], v[10:11], v[6:7]
	v_fma_f64 v[26:27], -v[18:19], v[20:21], 1.0
	v_fmac_f64_e32 v[20:21], v[20:21], v[26:27]
	v_fma_f64 v[26:27], -v[18:19], v[20:21], 1.0
	v_fmac_f64_e32 v[20:21], v[20:21], v[26:27]
	v_mul_f64 v[26:27], v[22:23], v[20:21]
	v_fma_f64 v[18:19], -v[18:19], v[26:27], v[22:23]
	v_div_scale_f64 v[22:23], s[42:43], v[10:11], v[10:11], v[8:9]
	v_rcp_f64_e32 v[28:29], v[22:23]
	v_div_fmas_f64 v[18:19], v[18:19], v[20:21], v[26:27]
	v_div_fixup_f64 v[18:19], v[18:19], v[10:11], v[6:7]
	v_fma_f64 v[20:21], -v[22:23], v[28:29], 1.0
	v_fmac_f64_e32 v[28:29], v[28:29], v[20:21]
	v_fma_f64 v[20:21], -v[22:23], v[28:29], 1.0
	v_fmac_f64_e32 v[28:29], v[28:29], v[20:21]
	v_div_scale_f64 v[20:21], vcc, v[8:9], v[10:11], v[8:9]
	v_mul_f64 v[26:27], v[20:21], v[28:29]
	v_fma_f64 v[20:21], -v[22:23], v[26:27], v[20:21]
	s_nop 1
	v_div_fmas_f64 v[20:21], v[20:21], v[28:29], v[26:27]
	v_div_fixup_f64 v[20:21], v[20:21], v[10:11], v[8:9]
	v_mul_f64 v[20:21], v[8:9], v[20:21]
	v_fma_f64 v[18:19], v[14:15], v[18:19], -v[20:21]
.LBB2_140:                              ;   in Loop: Header=BB2_102 Depth=2
	s_cbranch_execnz .LBB2_142
.LBB2_141:                              ;   in Loop: Header=BB2_102 Depth=2
	v_add_f64 v[10:11], v[16:17], -v[12:13]
	v_mul_f64 v[10:11], v[10:11], 0.5
	v_div_scale_f64 v[12:13], s[42:43], v[10:11], v[10:11], v[6:7]
	v_rcp_f64_e32 v[16:17], v[12:13]
	v_div_scale_f64 v[18:19], vcc, v[6:7], v[10:11], v[6:7]
	v_fma_f64 v[20:21], -v[12:13], v[16:17], 1.0
	v_fmac_f64_e32 v[16:17], v[16:17], v[20:21]
	v_fma_f64 v[20:21], -v[12:13], v[16:17], 1.0
	v_fmac_f64_e32 v[16:17], v[16:17], v[20:21]
	v_mul_f64 v[20:21], v[18:19], v[16:17]
	v_fma_f64 v[12:13], -v[12:13], v[20:21], v[18:19]
	v_div_scale_f64 v[18:19], s[42:43], v[10:11], v[10:11], v[8:9]
	v_rcp_f64_e32 v[22:23], v[18:19]
	v_div_fmas_f64 v[12:13], v[12:13], v[16:17], v[20:21]
	v_div_fixup_f64 v[6:7], v[12:13], v[10:11], v[6:7]
	v_fma_f64 v[12:13], -v[18:19], v[22:23], 1.0
	v_fmac_f64_e32 v[22:23], v[22:23], v[12:13]
	v_fma_f64 v[12:13], -v[18:19], v[22:23], 1.0
	v_fmac_f64_e32 v[22:23], v[22:23], v[12:13]
	v_div_scale_f64 v[12:13], vcc, v[8:9], v[10:11], v[8:9]
	v_mul_f64 v[16:17], v[12:13], v[22:23]
	v_fma_f64 v[12:13], -v[18:19], v[16:17], v[12:13]
	s_nop 1
	v_div_fmas_f64 v[12:13], v[12:13], v[22:23], v[16:17]
	v_div_fixup_f64 v[12:13], v[12:13], v[10:11], v[8:9]
	v_mul_f64 v[8:9], v[8:9], v[12:13]
	v_fma_f64 v[18:19], v[14:15], v[6:7], -v[8:9]
.LBB2_142:                              ;   in Loop: Header=BB2_102 Depth=2
	global_store_dwordx2 v2, v[10:11], s[38:39]
	global_store_dwordx2 v2, v[18:19], s[40:41]
	global_store_dwordx2 v2, v[2:3], s[6:7]
	s_add_i32 s36, s36, -2
	s_cbranch_execz .LBB2_101
	s_branch .LBB2_147
.LBB2_143:                              ;   in Loop: Header=BB2_102 Depth=2
	v_mov_b64_e32 v[14:15], v[18:19]
.LBB2_144:                              ;   in Loop: Header=BB2_102 Depth=2
	v_mov_b64_e32 v[16:17], v[10:11]
.LBB2_145:                              ;   in Loop: Header=BB2_102 Depth=2
	v_mul_f64 v[10:11], v[16:17], v[12:13]
	v_add_f64 v[8:9], v[8:9], v[14:15]
	s_add_i32 s37, s73, 1
	global_store_dwordx2 v2, v[10:11], s[44:45] offset:-8
	global_store_dwordx2 v2, v[8:9], s[38:39]
	s_mov_b64 s[44:45], -1
	s_and_b64 vcc, exec, s[42:43]
	s_cbranch_vccnz .LBB2_126
.LBB2_146:                              ;   in Loop: Header=BB2_102 Depth=2
	s_mov_b32 s73, s37
	s_and_b64 vcc, exec, s[44:45]
	s_cbranch_vccz .LBB2_101
.LBB2_147:                              ;   in Loop: Header=BB2_102 Depth=2
	s_cmp_lt_i32 s36, s29
	s_cselect_b64 s[6:7], -1, 0
	s_cmp_ge_i32 s73, s60
	s_cselect_b64 s[8:9], -1, 0
	s_or_b64 s[8:9], s[6:7], s[8:9]
	s_branch .LBB2_101
.LBB2_148:
	s_cmp_lt_i32 s33, 2
	s_cbranch_scc1 .LBB2_159
; %bb.149:
	s_load_dwordx2 s[0:1], s[0:1], 0x28
	s_lshl_b64 s[4:5], s[2:3], 2
	s_mov_b32 s2, 1
	v_mov_b32_e32 v0, 0
	s_waitcnt lgkmcnt(0)
	s_add_u32 s0, s0, s4
	s_addc_u32 s1, s1, s5
	s_branch .LBB2_151
.LBB2_150:                              ;   in Loop: Header=BB2_151 Depth=1
	s_add_i32 s2, s2, 1
	s_add_u32 s14, s14, 8
	s_addc_u32 s15, s15, 0
	s_cmp_lg_u32 s33, s2
	s_cbranch_scc0 .LBB2_153
.LBB2_151:                              ; =>This Inner Loop Header: Depth=1
	global_load_dwordx2 v[2:3], v0, s[14:15]
	s_waitcnt vmcnt(0)
	v_cmp_eq_f64_e32 vcc, 0, v[2:3]
	s_cbranch_vccnz .LBB2_150
; %bb.152:                              ;   in Loop: Header=BB2_151 Depth=1
	global_load_dword v1, v0, s[0:1]
	s_waitcnt vmcnt(0)
	v_add_u32_e32 v1, 1, v1
	global_store_dword v0, v1, s[0:1]
	s_branch .LBB2_150
.LBB2_153:
	s_add_u32 s0, s12, s10
	s_addc_u32 s1, s13, s11
	s_add_u32 s0, s0, 8
	s_addc_u32 s1, s1, 0
	s_mov_b32 s2, 1
	v_mov_b32_e32 v4, 0
	s_branch .LBB2_155
.LBB2_154:                              ;   in Loop: Header=BB2_155 Depth=1
	s_add_i32 s2, s2, 1
	s_add_u32 s0, s0, 8
	s_addc_u32 s1, s1, 0
	s_cmp_lg_u32 s2, s33
	s_cbranch_scc0 .LBB2_159
.LBB2_155:                              ; =>This Loop Header: Depth=1
                                        ;     Child Loop BB2_156 Depth 2
	s_ashr_i32 s3, s2, 31
	s_add_i32 s7, s2, -1
	s_lshl_b64 s[4:5], s[2:3], 3
	s_add_u32 s4, s58, s4
	s_addc_u32 s5, s59, s5
	global_load_dwordx2 v[0:1], v4, s[4:5] offset:-8
	s_mov_b64 s[8:9], s[0:1]
	s_mov_b32 s3, s2
	s_mov_b32 s6, s7
	s_waitcnt vmcnt(0)
	v_mov_b64_e32 v[2:3], v[0:1]
.LBB2_156:                              ;   Parent Loop BB2_155 Depth=1
                                        ; =>  This Inner Loop Header: Depth=2
	global_load_dwordx2 v[6:7], v4, s[8:9]
	s_waitcnt vmcnt(0)
	v_cmp_lt_f64_e32 vcc, v[6:7], v[2:3]
	s_and_b64 s[10:11], vcc, exec
	s_cselect_b32 s6, s3, s6
	s_add_i32 s3, s3, 1
	s_add_u32 s8, s8, 8
	s_addc_u32 s9, s9, 0
	v_cndmask_b32_e32 v3, v3, v7, vcc
	s_cmp_eq_u32 s33, s3
	v_cndmask_b32_e32 v2, v2, v6, vcc
	s_cbranch_scc0 .LBB2_156
; %bb.157:                              ;   in Loop: Header=BB2_155 Depth=1
	s_cmp_lg_u32 s6, s7
	s_cbranch_scc0 .LBB2_154
; %bb.158:                              ;   in Loop: Header=BB2_155 Depth=1
	s_ashr_i32 s7, s6, 31
	s_lshl_b64 s[6:7], s[6:7], 3
	s_add_u32 s6, s58, s6
	s_addc_u32 s7, s59, s7
	global_store_dwordx2 v4, v[0:1], s[6:7]
	global_store_dwordx2 v4, v[2:3], s[4:5] offset:-8
	s_branch .LBB2_154
.LBB2_159:
	s_endpgm
	.section	.rodata,"a",@progbits
	.p2align	6, 0x0
	.amdhsa_kernel _ZN9rocsolver6v33100L12sterf_kernelIdEEviPT_lS3_lPiS4_iS2_S2_S2_
		.amdhsa_group_segment_fixed_size 0
		.amdhsa_private_segment_fixed_size 0
		.amdhsa_kernarg_size 88
		.amdhsa_user_sgpr_count 2
		.amdhsa_user_sgpr_dispatch_ptr 0
		.amdhsa_user_sgpr_queue_ptr 0
		.amdhsa_user_sgpr_kernarg_segment_ptr 1
		.amdhsa_user_sgpr_dispatch_id 0
		.amdhsa_user_sgpr_kernarg_preload_length 0
		.amdhsa_user_sgpr_kernarg_preload_offset 0
		.amdhsa_user_sgpr_private_segment_size 0
		.amdhsa_uses_dynamic_stack 0
		.amdhsa_enable_private_segment 0
		.amdhsa_system_sgpr_workgroup_id_x 1
		.amdhsa_system_sgpr_workgroup_id_y 0
		.amdhsa_system_sgpr_workgroup_id_z 0
		.amdhsa_system_sgpr_workgroup_info 0
		.amdhsa_system_vgpr_workitem_id 0
		.amdhsa_next_free_vgpr 40
		.amdhsa_next_free_sgpr 74
		.amdhsa_accum_offset 40
		.amdhsa_reserve_vcc 1
		.amdhsa_float_round_mode_32 0
		.amdhsa_float_round_mode_16_64 0
		.amdhsa_float_denorm_mode_32 3
		.amdhsa_float_denorm_mode_16_64 3
		.amdhsa_dx10_clamp 1
		.amdhsa_ieee_mode 1
		.amdhsa_fp16_overflow 0
		.amdhsa_tg_split 0
		.amdhsa_exception_fp_ieee_invalid_op 0
		.amdhsa_exception_fp_denorm_src 0
		.amdhsa_exception_fp_ieee_div_zero 0
		.amdhsa_exception_fp_ieee_overflow 0
		.amdhsa_exception_fp_ieee_underflow 0
		.amdhsa_exception_fp_ieee_inexact 0
		.amdhsa_exception_int_div_zero 0
	.end_amdhsa_kernel
	.section	.text._ZN9rocsolver6v33100L12sterf_kernelIdEEviPT_lS3_lPiS4_iS2_S2_S2_,"axG",@progbits,_ZN9rocsolver6v33100L12sterf_kernelIdEEviPT_lS3_lPiS4_iS2_S2_S2_,comdat
.Lfunc_end2:
	.size	_ZN9rocsolver6v33100L12sterf_kernelIdEEviPT_lS3_lPiS4_iS2_S2_S2_, .Lfunc_end2-_ZN9rocsolver6v33100L12sterf_kernelIdEEviPT_lS3_lPiS4_iS2_S2_S2_
                                        ; -- End function
	.set _ZN9rocsolver6v33100L12sterf_kernelIdEEviPT_lS3_lPiS4_iS2_S2_S2_.num_vgpr, 40
	.set _ZN9rocsolver6v33100L12sterf_kernelIdEEviPT_lS3_lPiS4_iS2_S2_S2_.num_agpr, 0
	.set _ZN9rocsolver6v33100L12sterf_kernelIdEEviPT_lS3_lPiS4_iS2_S2_S2_.numbered_sgpr, 74
	.set _ZN9rocsolver6v33100L12sterf_kernelIdEEviPT_lS3_lPiS4_iS2_S2_S2_.num_named_barrier, 0
	.set _ZN9rocsolver6v33100L12sterf_kernelIdEEviPT_lS3_lPiS4_iS2_S2_S2_.private_seg_size, 0
	.set _ZN9rocsolver6v33100L12sterf_kernelIdEEviPT_lS3_lPiS4_iS2_S2_S2_.uses_vcc, 1
	.set _ZN9rocsolver6v33100L12sterf_kernelIdEEviPT_lS3_lPiS4_iS2_S2_S2_.uses_flat_scratch, 0
	.set _ZN9rocsolver6v33100L12sterf_kernelIdEEviPT_lS3_lPiS4_iS2_S2_S2_.has_dyn_sized_stack, 0
	.set _ZN9rocsolver6v33100L12sterf_kernelIdEEviPT_lS3_lPiS4_iS2_S2_S2_.has_recursion, 0
	.set _ZN9rocsolver6v33100L12sterf_kernelIdEEviPT_lS3_lPiS4_iS2_S2_S2_.has_indirect_call, 0
	.section	.AMDGPU.csdata,"",@progbits
; Kernel info:
; codeLenInByte = 8244
; TotalNumSgprs: 80
; NumVgprs: 40
; NumAgprs: 0
; TotalNumVgprs: 40
; ScratchSize: 0
; MemoryBound: 0
; FloatMode: 240
; IeeeMode: 1
; LDSByteSize: 0 bytes/workgroup (compile time only)
; SGPRBlocks: 9
; VGPRBlocks: 4
; NumSGPRsForWavesPerEU: 80
; NumVGPRsForWavesPerEU: 40
; AccumOffset: 40
; Occupancy: 8
; WaveLimiterHint : 0
; COMPUTE_PGM_RSRC2:SCRATCH_EN: 0
; COMPUTE_PGM_RSRC2:USER_SGPR: 2
; COMPUTE_PGM_RSRC2:TRAP_HANDLER: 0
; COMPUTE_PGM_RSRC2:TGID_X_EN: 1
; COMPUTE_PGM_RSRC2:TGID_Y_EN: 0
; COMPUTE_PGM_RSRC2:TGID_Z_EN: 0
; COMPUTE_PGM_RSRC2:TIDIG_COMP_CNT: 0
; COMPUTE_PGM_RSRC3_GFX90A:ACCUM_OFFSET: 9
; COMPUTE_PGM_RSRC3_GFX90A:TG_SPLIT: 0
	.section	.AMDGPU.gpr_maximums,"",@progbits
	.set amdgpu.max_num_vgpr, 0
	.set amdgpu.max_num_agpr, 0
	.set amdgpu.max_num_sgpr, 0
	.section	.AMDGPU.csdata,"",@progbits
	.type	__hip_cuid_a3b2826aa35d1e0c,@object ; @__hip_cuid_a3b2826aa35d1e0c
	.section	.bss,"aw",@nobits
	.globl	__hip_cuid_a3b2826aa35d1e0c
__hip_cuid_a3b2826aa35d1e0c:
	.byte	0                               ; 0x0
	.size	__hip_cuid_a3b2826aa35d1e0c, 1

	.ident	"AMD clang version 22.0.0git (https://github.com/RadeonOpenCompute/llvm-project roc-7.2.4 26084 f58b06dce1f9c15707c5f808fd002e18c2accf7e)"
	.section	".note.GNU-stack","",@progbits
	.addrsig
	.addrsig_sym __hip_cuid_a3b2826aa35d1e0c
	.amdgpu_metadata
---
amdhsa.kernels:
  - .agpr_count:     0
    .args:
      - .address_space:  global
        .offset:         0
        .size:           8
        .value_kind:     global_buffer
      - .offset:         8
        .size:           4
        .value_kind:     by_value
      - .offset:         12
        .size:           4
        .value_kind:     by_value
      - .offset:         16
        .size:           4
        .value_kind:     by_value
      - .offset:         24
        .size:           4
        .value_kind:     hidden_block_count_x
      - .offset:         28
        .size:           4
        .value_kind:     hidden_block_count_y
      - .offset:         32
        .size:           4
        .value_kind:     hidden_block_count_z
      - .offset:         36
        .size:           2
        .value_kind:     hidden_group_size_x
      - .offset:         38
        .size:           2
        .value_kind:     hidden_group_size_y
      - .offset:         40
        .size:           2
        .value_kind:     hidden_group_size_z
      - .offset:         42
        .size:           2
        .value_kind:     hidden_remainder_x
      - .offset:         44
        .size:           2
        .value_kind:     hidden_remainder_y
      - .offset:         46
        .size:           2
        .value_kind:     hidden_remainder_z
      - .offset:         64
        .size:           8
        .value_kind:     hidden_global_offset_x
      - .offset:         72
        .size:           8
        .value_kind:     hidden_global_offset_y
      - .offset:         80
        .size:           8
        .value_kind:     hidden_global_offset_z
      - .offset:         88
        .size:           2
        .value_kind:     hidden_grid_dims
    .group_segment_fixed_size: 0
    .kernarg_segment_align: 8
    .kernarg_segment_size: 280
    .language:       OpenCL C
    .language_version:
      - 2
      - 0
    .max_flat_workgroup_size: 1024
    .name:           _ZN9rocsolver6v33100L10reset_infoIiiiEEvPT_T0_T1_S4_
    .private_segment_fixed_size: 0
    .sgpr_count:     14
    .sgpr_spill_count: 0
    .symbol:         _ZN9rocsolver6v33100L10reset_infoIiiiEEvPT_T0_T1_S4_.kd
    .uniform_work_group_size: 1
    .uses_dynamic_stack: false
    .vgpr_count:     3
    .vgpr_spill_count: 0
    .wavefront_size: 64
  - .agpr_count:     0
    .args:
      - .offset:         0
        .size:           4
        .value_kind:     by_value
      - .address_space:  global
        .offset:         8
        .size:           8
        .value_kind:     global_buffer
      - .offset:         16
        .size:           8
        .value_kind:     by_value
      - .address_space:  global
        .offset:         24
        .size:           8
        .value_kind:     global_buffer
      - .offset:         32
        .size:           8
        .value_kind:     by_value
      - .address_space:  global
        .offset:         40
        .size:           8
        .value_kind:     global_buffer
      - .address_space:  global
        .offset:         48
        .size:           8
        .value_kind:     global_buffer
      - .offset:         56
        .size:           4
        .value_kind:     by_value
      - .offset:         60
        .size:           4
        .value_kind:     by_value
      - .offset:         64
        .size:           4
        .value_kind:     by_value
      - .offset:         68
        .size:           4
        .value_kind:     by_value
    .group_segment_fixed_size: 0
    .kernarg_segment_align: 8
    .kernarg_segment_size: 72
    .language:       OpenCL C
    .language_version:
      - 2
      - 0
    .max_flat_workgroup_size: 1024
    .name:           _ZN9rocsolver6v33100L12sterf_kernelIfEEviPT_lS3_lPiS4_iS2_S2_S2_
    .private_segment_fixed_size: 0
    .sgpr_count:     80
    .sgpr_spill_count: 0
    .symbol:         _ZN9rocsolver6v33100L12sterf_kernelIfEEviPT_lS3_lPiS4_iS2_S2_S2_.kd
    .uniform_work_group_size: 1
    .uses_dynamic_stack: false
    .vgpr_count:     28
    .vgpr_spill_count: 0
    .wavefront_size: 64
  - .agpr_count:     0
    .args:
      - .offset:         0
        .size:           4
        .value_kind:     by_value
      - .address_space:  global
        .offset:         8
        .size:           8
        .value_kind:     global_buffer
      - .offset:         16
        .size:           8
        .value_kind:     by_value
      - .address_space:  global
        .offset:         24
        .size:           8
        .value_kind:     global_buffer
      - .offset:         32
        .size:           8
        .value_kind:     by_value
      - .address_space:  global
        .offset:         40
        .size:           8
        .value_kind:     global_buffer
      - .address_space:  global
        .offset:         48
        .size:           8
        .value_kind:     global_buffer
      - .offset:         56
        .size:           4
        .value_kind:     by_value
      - .offset:         64
        .size:           8
        .value_kind:     by_value
      - .offset:         72
        .size:           8
        .value_kind:     by_value
      - .offset:         80
        .size:           8
        .value_kind:     by_value
    .group_segment_fixed_size: 0
    .kernarg_segment_align: 8
    .kernarg_segment_size: 88
    .language:       OpenCL C
    .language_version:
      - 2
      - 0
    .max_flat_workgroup_size: 1024
    .name:           _ZN9rocsolver6v33100L12sterf_kernelIdEEviPT_lS3_lPiS4_iS2_S2_S2_
    .private_segment_fixed_size: 0
    .sgpr_count:     80
    .sgpr_spill_count: 0
    .symbol:         _ZN9rocsolver6v33100L12sterf_kernelIdEEviPT_lS3_lPiS4_iS2_S2_S2_.kd
    .uniform_work_group_size: 1
    .uses_dynamic_stack: false
    .vgpr_count:     40
    .vgpr_spill_count: 0
    .wavefront_size: 64
amdhsa.target:   amdgcn-amd-amdhsa--gfx950
amdhsa.version:
  - 1
  - 2
...

	.end_amdgpu_metadata
